;; amdgpu-corpus repo=ROCm/rocFFT kind=compiled arch=gfx906 opt=O3
	.text
	.amdgcn_target "amdgcn-amd-amdhsa--gfx906"
	.amdhsa_code_object_version 6
	.protected	bluestein_single_back_len221_dim1_sp_op_CI_CI ; -- Begin function bluestein_single_back_len221_dim1_sp_op_CI_CI
	.globl	bluestein_single_back_len221_dim1_sp_op_CI_CI
	.p2align	8
	.type	bluestein_single_back_len221_dim1_sp_op_CI_CI,@function
bluestein_single_back_len221_dim1_sp_op_CI_CI: ; @bluestein_single_back_len221_dim1_sp_op_CI_CI
; %bb.0:
	v_mul_u32_u24_e32 v1, 0xf10, v0
	s_load_dwordx4 s[0:3], s[4:5], 0x28
	v_lshrrev_b32_e32 v1, 16, v1
	v_mad_u64_u32 v[56:57], s[6:7], s6, 7, v[1:2]
	v_mov_b32_e32 v57, 0
	s_waitcnt lgkmcnt(0)
	v_cmp_gt_u64_e32 vcc, s[0:1], v[56:57]
	s_and_saveexec_b64 s[0:1], vcc
	s_cbranch_execz .LBB0_15
; %bb.1:
	s_mov_b32 s0, 0x24924925
	v_mul_hi_u32 v2, v56, s0
	s_load_dwordx2 s[6:7], s[4:5], 0x0
	s_load_dwordx2 s[12:13], s[4:5], 0x38
	v_mul_lo_u16_e32 v1, 17, v1
	v_sub_u16_e32 v71, v0, v1
	v_sub_u32_e32 v3, v56, v2
	v_lshrrev_b32_e32 v3, 1, v3
	v_add_u32_e32 v2, v3, v2
	v_lshrrev_b32_e32 v2, 2, v2
	v_mul_lo_u32 v2, v2, 7
	v_cmp_gt_u16_e32 vcc, 13, v71
	v_lshlrev_b32_e32 v72, 3, v71
	v_sub_u32_e32 v0, v56, v2
	v_mul_u32_u24_e32 v42, 0xdd, v0
	v_lshlrev_b32_e32 v73, 3, v42
	s_and_saveexec_b64 s[14:15], vcc
	s_cbranch_execz .LBB0_3
; %bb.2:
	s_load_dwordx2 s[0:1], s[4:5], 0x18
	v_or_b32_e32 v65, 0xd0, v71
	s_waitcnt lgkmcnt(0)
	s_load_dwordx4 s[8:11], s[0:1], 0x0
	s_waitcnt lgkmcnt(0)
	v_mad_u64_u32 v[0:1], s[0:1], s10, v56, 0
	v_mad_u64_u32 v[2:3], s[0:1], s8, v71, 0
	;; [unrolled: 1-line block ×4, first 2 shown]
	v_mov_b32_e32 v1, v4
	v_lshlrev_b64 v[0:1], 3, v[0:1]
	v_mov_b32_e32 v3, v5
	v_mov_b32_e32 v6, s3
	v_lshlrev_b64 v[2:3], 3, v[2:3]
	v_add_co_u32_e64 v70, s[0:1], s2, v0
	v_addc_co_u32_e64 v76, s[0:1], v6, v1, s[0:1]
	v_add_co_u32_e64 v0, s[0:1], v70, v2
	v_addc_co_u32_e64 v1, s[0:1], v76, v3, s[0:1]
	s_mul_i32 s0, s9, 0x68
	s_mul_hi_u32 s3, s8, 0x68
	s_add_i32 s3, s3, s0
	s_mul_i32 s2, s8, 0x68
	v_mov_b32_e32 v3, s3
	v_add_co_u32_e64 v2, s[0:1], s2, v0
	v_addc_co_u32_e64 v3, s[0:1], v1, v3, s[0:1]
	v_mov_b32_e32 v5, s3
	v_add_co_u32_e64 v4, s[0:1], s2, v2
	v_addc_co_u32_e64 v5, s[0:1], v3, v5, s[0:1]
	;; [unrolled: 3-line block ×3, first 2 shown]
	global_load_dwordx2 v[8:9], v[0:1], off
	global_load_dwordx2 v[10:11], v[2:3], off
	global_load_dwordx2 v[12:13], v[4:5], off
	global_load_dwordx2 v[14:15], v[6:7], off
	global_load_dwordx2 v[16:17], v72, s[6:7]
	global_load_dwordx2 v[18:19], v72, s[6:7] offset:104
	global_load_dwordx2 v[20:21], v72, s[6:7] offset:208
	;; [unrolled: 1-line block ×3, first 2 shown]
	v_mov_b32_e32 v1, s3
	v_add_co_u32_e64 v0, s[0:1], s2, v6
	v_addc_co_u32_e64 v1, s[0:1], v7, v1, s[0:1]
	global_load_dwordx2 v[2:3], v[0:1], off
	v_mov_b32_e32 v4, s3
	v_add_co_u32_e64 v0, s[0:1], s2, v0
	v_addc_co_u32_e64 v1, s[0:1], v1, v4, s[0:1]
	global_load_dwordx2 v[4:5], v[0:1], off
	;; [unrolled: 4-line block ×4, first 2 shown]
	global_load_dwordx2 v[26:27], v72, s[6:7] offset:416
	global_load_dwordx2 v[28:29], v72, s[6:7] offset:520
	;; [unrolled: 1-line block ×4, first 2 shown]
	v_mov_b32_e32 v34, s3
	v_add_co_u32_e64 v0, s[0:1], s2, v0
	v_addc_co_u32_e64 v1, s[0:1], v1, v34, s[0:1]
	global_load_dwordx2 v[34:35], v[0:1], off
	v_mov_b32_e32 v36, s3
	v_add_co_u32_e64 v0, s[0:1], s2, v0
	v_addc_co_u32_e64 v1, s[0:1], v1, v36, s[0:1]
	global_load_dwordx2 v[36:37], v[0:1], off
	;; [unrolled: 4-line block ×4, first 2 shown]
	global_load_dwordx2 v[43:44], v72, s[6:7] offset:832
	global_load_dwordx2 v[45:46], v72, s[6:7] offset:936
	;; [unrolled: 1-line block ×4, first 2 shown]
	v_mov_b32_e32 v51, s3
	v_add_co_u32_e64 v0, s[0:1], s2, v0
	v_addc_co_u32_e64 v1, s[0:1], v1, v51, s[0:1]
	global_load_dwordx2 v[51:52], v[0:1], off
	global_load_dwordx2 v[53:54], v72, s[6:7] offset:1248
	v_mov_b32_e32 v55, s3
	v_add_co_u32_e64 v0, s[0:1], s2, v0
	v_addc_co_u32_e64 v1, s[0:1], v1, v55, s[0:1]
	global_load_dwordx2 v[57:58], v[0:1], off
	v_add_co_u32_e64 v0, s[0:1], s2, v0
	v_addc_co_u32_e64 v1, s[0:1], v1, v55, s[0:1]
	v_mad_u64_u32 v[61:62], s[0:1], s8, v65, 0
	global_load_dwordx2 v[59:60], v[0:1], off
	v_add_co_u32_e64 v0, s[0:1], s2, v0
	v_addc_co_u32_e64 v1, s[0:1], v1, v55, s[0:1]
	v_mov_b32_e32 v55, v62
	v_mad_u64_u32 v[65:66], s[0:1], s9, v65, v[55:56]
	global_load_dwordx2 v[63:64], v72, s[6:7] offset:1352
	global_load_dwordx2 v[66:67], v[0:1], off
	global_load_dwordx2 v[68:69], v72, s[6:7] offset:1456
	global_load_dwordx2 v[74:75], v72, s[6:7] offset:1560
	v_mov_b32_e32 v62, v65
	v_lshlrev_b64 v[0:1], 3, v[61:62]
	v_lshl_add_u32 v55, v71, 3, v73
	v_add_co_u32_e64 v0, s[0:1], v70, v0
	v_addc_co_u32_e64 v1, s[0:1], v76, v1, s[0:1]
	global_load_dwordx2 v[61:62], v[0:1], off
	global_load_dwordx2 v[76:77], v72, s[6:7] offset:1664
	s_waitcnt vmcnt(29)
	v_mul_f32_e32 v0, v9, v17
	v_mul_f32_e32 v1, v8, v17
	v_fmac_f32_e32 v0, v8, v16
	v_fma_f32 v1, v9, v16, -v1
	ds_write_b64 v55, v[0:1]
	s_waitcnt vmcnt(28)
	v_mul_f32_e32 v0, v11, v19
	v_mul_f32_e32 v1, v10, v19
	s_waitcnt vmcnt(27)
	v_mul_f32_e32 v8, v13, v21
	v_mul_f32_e32 v9, v12, v21
	v_fmac_f32_e32 v0, v10, v18
	v_add_u32_e32 v16, v73, v72
	v_fma_f32 v1, v11, v18, -v1
	v_fmac_f32_e32 v8, v12, v20
	v_fma_f32 v9, v13, v20, -v9
	ds_write2_b64 v16, v[0:1], v[8:9] offset0:13 offset1:26
	s_waitcnt vmcnt(26)
	v_mul_f32_e32 v0, v15, v23
	s_waitcnt vmcnt(21)
	v_mul_f32_e32 v8, v3, v27
	v_mul_f32_e32 v1, v14, v23
	v_fmac_f32_e32 v8, v2, v26
	v_mul_f32_e32 v2, v2, v27
	v_fmac_f32_e32 v0, v14, v22
	v_fma_f32 v1, v15, v22, -v1
	v_fma_f32 v9, v3, v26, -v2
	ds_write2_b64 v16, v[0:1], v[8:9] offset0:39 offset1:52
	s_waitcnt vmcnt(20)
	v_mul_f32_e32 v0, v5, v29
	v_mul_f32_e32 v1, v4, v29
	s_waitcnt vmcnt(19)
	v_mul_f32_e32 v2, v7, v31
	v_mul_f32_e32 v3, v6, v31
	v_fmac_f32_e32 v0, v4, v28
	v_fma_f32 v1, v5, v28, -v1
	v_fmac_f32_e32 v2, v6, v30
	v_fma_f32 v3, v7, v30, -v3
	ds_write2_b64 v16, v[0:1], v[2:3] offset0:65 offset1:78
	s_waitcnt vmcnt(18)
	v_mul_f32_e32 v0, v25, v33
	v_mul_f32_e32 v1, v24, v33
	v_fmac_f32_e32 v0, v24, v32
	v_fma_f32 v1, v25, v32, -v1
	s_waitcnt vmcnt(13)
	v_mul_f32_e32 v2, v35, v44
	v_mul_f32_e32 v3, v34, v44
	v_fmac_f32_e32 v2, v34, v43
	v_fma_f32 v3, v35, v43, -v3
	ds_write2_b64 v16, v[0:1], v[2:3] offset0:91 offset1:104
	s_waitcnt vmcnt(12)
	v_mul_f32_e32 v0, v37, v46
	v_mul_f32_e32 v1, v36, v46
	s_waitcnt vmcnt(11)
	v_mul_f32_e32 v2, v39, v48
	v_mul_f32_e32 v3, v38, v48
	v_fmac_f32_e32 v0, v36, v45
	v_fma_f32 v1, v37, v45, -v1
	v_fmac_f32_e32 v2, v38, v47
	v_fma_f32 v3, v39, v47, -v3
	ds_write2_b64 v16, v[0:1], v[2:3] offset0:117 offset1:130
	s_waitcnt vmcnt(10)
	v_mul_f32_e32 v0, v41, v50
	v_mul_f32_e32 v1, v40, v50
	s_waitcnt vmcnt(8)
	v_mul_f32_e32 v2, v52, v54
	v_mul_f32_e32 v3, v51, v54
	v_fmac_f32_e32 v0, v40, v49
	v_fma_f32 v1, v41, v49, -v1
	;; [unrolled: 11-line block ×4, first 2 shown]
	v_fmac_f32_e32 v2, v61, v76
	v_fma_f32 v3, v62, v76, -v3
	ds_write2_b64 v16, v[0:1], v[2:3] offset0:195 offset1:208
.LBB0_3:
	s_or_b64 exec, exec, s[14:15]
	s_load_dwordx2 s[0:1], s[4:5], 0x20
	s_load_dwordx2 s[8:9], s[4:5], 0x8
	v_mov_b32_e32 v8, 0
	v_mov_b32_e32 v9, 0
	s_waitcnt lgkmcnt(0)
	s_barrier
	s_waitcnt lgkmcnt(0)
                                        ; implicit-def: $vgpr14
                                        ; implicit-def: $vgpr16
                                        ; implicit-def: $vgpr32
                                        ; implicit-def: $vgpr36
                                        ; implicit-def: $vgpr4
                                        ; implicit-def: $vgpr30
                                        ; implicit-def: $vgpr26
                                        ; implicit-def: $vgpr22
	s_and_saveexec_b64 s[2:3], vcc
	s_cbranch_execz .LBB0_5
; %bb.4:
	v_lshl_add_u32 v0, v42, 3, v72
	ds_read2_b64 v[8:11], v0 offset1:13
	ds_read2_b64 v[20:23], v0 offset0:26 offset1:39
	ds_read2_b64 v[24:27], v0 offset0:52 offset1:65
	;; [unrolled: 1-line block ×7, first 2 shown]
	ds_read_b64 v[4:5], v0 offset:1664
.LBB0_5:
	s_or_b64 exec, exec, s[2:3]
	s_waitcnt lgkmcnt(0)
	v_sub_f32_e32 v75, v11, v5
	v_mul_f32_e32 v59, 0xbeb8f4ab, v75
	v_sub_f32_e32 v79, v21, v39
	v_add_f32_e32 v43, v4, v10
	v_sub_f32_e32 v78, v10, v4
	v_mov_b32_e32 v0, v59
	v_mul_f32_e32 v63, 0xbf2c7751, v79
	v_add_f32_e32 v44, v5, v11
	s_mov_b32 s4, 0x3f6eb680
	v_mul_f32_e32 v61, 0xbeb8f4ab, v78
	v_fmac_f32_e32 v0, 0x3f6eb680, v43
	v_add_f32_e32 v45, v38, v20
	v_sub_f32_e32 v82, v20, v38
	v_mov_b32_e32 v2, v63
	v_add_f32_e32 v0, v0, v8
	v_fma_f32 v1, v44, s4, -v61
	s_mov_b32 s5, 0x3f3d2fb0
	v_add_f32_e32 v46, v39, v21
	v_mul_f32_e32 v64, 0xbf2c7751, v82
	v_fmac_f32_e32 v2, 0x3f3d2fb0, v45
	v_sub_f32_e32 v83, v23, v37
	v_add_f32_e32 v1, v1, v9
	v_add_f32_e32 v0, v2, v0
	v_fma_f32 v2, v46, s5, -v64
	v_mul_f32_e32 v66, 0xbf65296c, v83
	v_add_f32_e32 v1, v2, v1
	v_add_f32_e32 v47, v36, v22
	v_sub_f32_e32 v85, v22, v36
	v_mov_b32_e32 v2, v66
	s_mov_b32 s10, 0x3ee437d1
	v_add_f32_e32 v48, v37, v23
	v_mul_f32_e32 v67, 0xbf65296c, v85
	v_fmac_f32_e32 v2, 0x3ee437d1, v47
	v_sub_f32_e32 v87, v25, v35
	v_add_f32_e32 v0, v2, v0
	v_fma_f32 v2, v48, s10, -v67
	v_mul_f32_e32 v68, 0xbf7ee86f, v87
	v_add_f32_e32 v1, v2, v1
	v_add_f32_e32 v49, v34, v24
	v_sub_f32_e32 v88, v24, v34
	v_mov_b32_e32 v2, v68
	s_mov_b32 s11, 0x3dbcf732
	v_add_f32_e32 v50, v35, v25
	v_mul_f32_e32 v69, 0xbf7ee86f, v88
	v_fmac_f32_e32 v2, 0x3dbcf732, v49
	v_sub_f32_e32 v89, v27, v33
	;; [unrolled: 12-line block ×5, first 2 shown]
	v_add_f32_e32 v0, v2, v0
	v_fma_f32 v2, v60, s17, -v81
	v_mul_f32_e32 v84, 0xbe3c28d5, v111
	v_add_f32_e32 v1, v2, v1
	v_add_f32_e32 v62, v14, v12
	v_mov_b32_e32 v2, v84
	v_sub_f32_e32 v120, v12, v14
	s_mov_b32 s15, 0xbf7ba420
	v_fmac_f32_e32 v2, 0xbf7ba420, v62
	v_add_f32_e32 v65, v15, v13
	v_mul_f32_e32 v86, 0xbe3c28d5, v120
	v_add_f32_e32 v57, v2, v0
	v_fma_f32 v0, v65, s15, -v86
	v_mul_f32_e32 v90, 0xbf2c7751, v75
	v_add_f32_e32 v58, v0, v1
	v_mov_b32_e32 v0, v90
	v_mul_f32_e32 v91, 0xbf7ee86f, v79
	v_fmac_f32_e32 v0, 0x3f3d2fb0, v43
	v_mov_b32_e32 v1, v91
	v_add_f32_e32 v0, v0, v8
	v_fmac_f32_e32 v1, 0x3dbcf732, v45
	v_mul_f32_e32 v95, 0xbf2c7751, v78
	v_add_f32_e32 v0, v1, v0
	v_fma_f32 v1, v44, s5, -v95
	v_mul_f32_e32 v97, 0xbf7ee86f, v82
	v_add_f32_e32 v1, v1, v9
	v_fma_f32 v2, v46, s11, -v97
	v_mul_f32_e32 v92, 0xbf4c4adb, v83
	v_add_f32_e32 v1, v2, v1
	v_mov_b32_e32 v2, v92
	v_fmac_f32_e32 v2, 0xbf1a4643, v47
	v_mul_f32_e32 v100, 0xbf4c4adb, v85
	v_add_f32_e32 v0, v2, v0
	v_fma_f32 v2, v48, s14, -v100
	v_mul_f32_e32 v93, 0xbe3c28d5, v87
	v_add_f32_e32 v1, v2, v1
	v_mov_b32_e32 v2, v93
	v_fmac_f32_e32 v2, 0xbf7ba420, v49
	;; [unrolled: 7-line block ×6, first 2 shown]
	v_mul_f32_e32 v108, 0x3eb8f4ab, v120
	v_mul_f32_e32 v112, 0xbf65296c, v75
	v_fma_f32 v3, v65, s4, -v108
	v_add_f32_e32 v2, v2, v0
	v_mov_b32_e32 v0, v112
	v_mul_f32_e32 v113, 0xbf4c4adb, v79
	v_add_f32_e32 v3, v3, v1
	v_fmac_f32_e32 v0, 0x3ee437d1, v43
	v_mov_b32_e32 v1, v113
	v_add_f32_e32 v0, v0, v8
	v_fmac_f32_e32 v1, 0xbf1a4643, v45
	v_mul_f32_e32 v114, 0x3e3c28d5, v83
	v_add_f32_e32 v0, v1, v0
	v_mov_b32_e32 v1, v114
	v_fmac_f32_e32 v1, 0xbf7ba420, v47
	v_mul_f32_e32 v115, 0x3f763a35, v87
	v_add_f32_e32 v0, v1, v0
	v_mov_b32_e32 v1, v115
	;; [unrolled: 4-line block ×6, first 2 shown]
	v_fmac_f32_e32 v1, 0xbf59a7d5, v62
	v_mul_f32_e32 v121, 0xbf65296c, v78
	v_add_f32_e32 v0, v1, v0
	v_fma_f32 v1, v44, s10, -v121
	v_mul_f32_e32 v122, 0xbf4c4adb, v82
	v_add_f32_e32 v1, v1, v9
	v_fma_f32 v6, v46, s14, -v122
	;; [unrolled: 3-line block ×8, first 2 shown]
	v_mul_f32_e32 v129, 0xbf7ee86f, v75
	v_add_f32_e32 v1, v6, v1
	v_mov_b32_e32 v6, v129
	v_mul_f32_e32 v130, 0xbe3c28d5, v79
	v_fmac_f32_e32 v6, 0x3dbcf732, v43
	v_mov_b32_e32 v7, v130
	v_add_f32_e32 v6, v6, v8
	v_fmac_f32_e32 v7, 0xbf7ba420, v45
	v_mul_f32_e32 v136, 0xbf7ee86f, v78
	v_add_f32_e32 v6, v7, v6
	v_fma_f32 v7, v44, s11, -v136
	v_mul_f32_e32 v137, 0xbe3c28d5, v82
	v_add_f32_e32 v7, v7, v9
	v_fma_f32 v40, v46, s15, -v137
	v_mul_f32_e32 v131, 0x3f763a35, v83
	v_add_f32_e32 v7, v40, v7
	v_mov_b32_e32 v40, v131
	v_fmac_f32_e32 v40, 0xbe8c1d8e, v47
	v_mul_f32_e32 v139, 0x3f763a35, v85
	v_add_f32_e32 v6, v40, v6
	v_fma_f32 v40, v48, s16, -v139
	v_mul_f32_e32 v132, 0x3eb8f4ab, v87
	v_add_f32_e32 v7, v40, v7
	v_mov_b32_e32 v40, v132
	v_fmac_f32_e32 v40, 0x3f6eb680, v49
	;; [unrolled: 7-line block ×5, first 2 shown]
	v_mul_f32_e32 v143, 0x3f4c4adb, v110
	v_add_f32_e32 v6, v40, v6
	v_fma_f32 v40, v60, s14, -v143
	v_mul_f32_e32 v138, 0x3f2c7751, v111
	v_add_f32_e32 v7, v40, v7
	v_mov_b32_e32 v40, v138
	v_mul_f32_e32 v144, 0x3f2c7751, v120
	v_fmac_f32_e32 v40, 0x3f3d2fb0, v62
	v_fma_f32 v41, v65, s5, -v144
	v_add_f32_e32 v6, v40, v6
	v_add_f32_e32 v7, v41, v7
	s_barrier
	s_and_saveexec_b64 s[2:3], vcc
	s_cbranch_execz .LBB0_7
; %bb.6:
	v_mul_f32_e32 v201, 0xbe3c28d5, v78
	v_mov_b32_e32 v40, v201
	v_mul_f32_e32 v202, 0x3eb8f4ab, v82
	v_fmac_f32_e32 v40, 0xbf7ba420, v44
	v_mov_b32_e32 v41, v202
	v_add_f32_e32 v40, v40, v9
	v_fmac_f32_e32 v41, 0x3f6eb680, v46
	v_mul_f32_e32 v203, 0xbf06c442, v85
	v_add_f32_e32 v40, v41, v40
	v_mov_b32_e32 v41, v203
	v_fmac_f32_e32 v41, 0xbf59a7d5, v48
	v_mul_f32_e32 v204, 0x3f2c7751, v88
	v_add_f32_e32 v40, v41, v40
	v_mov_b32_e32 v41, v204
	;; [unrolled: 4-line block ×6, first 2 shown]
	v_fmac_f32_e32 v41, 0x3dbcf732, v65
	v_mul_f32_e32 v209, 0xbe3c28d5, v75
	v_add_f32_e32 v41, v41, v40
	v_fma_f32 v40, v43, s15, -v209
	v_mul_f32_e32 v210, 0x3eb8f4ab, v79
	v_add_f32_e32 v40, v40, v8
	v_fma_f32 v145, v45, s4, -v210
	;; [unrolled: 3-line block ×8, first 2 shown]
	v_mul_f32_e32 v217, 0xbf06c442, v78
	v_add_f32_e32 v40, v145, v40
	v_mov_b32_e32 v145, v217
	v_mul_f32_e32 v218, 0x3f65296c, v82
	v_fmac_f32_e32 v145, 0xbf59a7d5, v44
	v_mov_b32_e32 v146, v218
	v_add_f32_e32 v145, v145, v9
	v_fmac_f32_e32 v146, 0x3ee437d1, v46
	v_mul_f32_e32 v219, 0xbf7ee86f, v85
	v_add_f32_e32 v145, v146, v145
	v_mov_b32_e32 v146, v219
	v_fmac_f32_e32 v146, 0x3dbcf732, v48
	v_mul_f32_e32 v220, 0x3f4c4adb, v88
	v_add_f32_e32 v145, v146, v145
	v_mov_b32_e32 v146, v220
	;; [unrolled: 4-line block ×6, first 2 shown]
	v_fmac_f32_e32 v146, 0xbe8c1d8e, v65
	v_mul_f32_e32 v225, 0xbf06c442, v75
	v_add_f32_e32 v146, v146, v145
	v_fma_f32 v145, v43, s17, -v225
	v_mul_f32_e32 v226, 0x3f65296c, v79
	v_add_f32_e32 v145, v145, v8
	v_fma_f32 v147, v45, s10, -v226
	;; [unrolled: 3-line block ×8, first 2 shown]
	v_mul_f32_e32 v233, 0xbf4c4adb, v78
	v_add_f32_e32 v145, v147, v145
	v_mov_b32_e32 v147, v233
	v_mul_f32_e32 v234, 0x3f763a35, v82
	v_fmac_f32_e32 v147, 0xbf1a4643, v44
	v_mov_b32_e32 v148, v234
	v_add_f32_e32 v147, v147, v9
	v_fmac_f32_e32 v148, 0xbe8c1d8e, v46
	v_mul_f32_e32 v235, 0xbeb8f4ab, v85
	v_add_f32_e32 v147, v148, v147
	v_mov_b32_e32 v148, v235
	v_fmac_f32_e32 v148, 0x3f6eb680, v48
	v_mul_f32_e32 v236, 0xbf06c442, v88
	v_add_f32_e32 v147, v148, v147
	v_mov_b32_e32 v148, v236
	;; [unrolled: 4-line block ×6, first 2 shown]
	v_fmac_f32_e32 v148, 0x3ee437d1, v65
	v_mul_f32_e32 v241, 0xbf4c4adb, v75
	v_add_f32_e32 v148, v148, v147
	v_fma_f32 v147, v43, s14, -v241
	v_mul_f32_e32 v242, 0x3f763a35, v79
	v_add_f32_e32 v147, v147, v8
	v_fma_f32 v243, v45, s16, -v242
	v_add_f32_e32 v147, v243, v147
	v_mul_f32_e32 v243, 0xbeb8f4ab, v83
	v_fma_f32 v244, v47, s4, -v243
	v_add_f32_e32 v147, v244, v147
	v_mul_f32_e32 v244, 0xbf06c442, v87
	;; [unrolled: 3-line block ×7, first 2 shown]
	v_mov_b32_e32 v78, v249
	v_mul_f32_e32 v250, 0x3f06c442, v82
	v_fmac_f32_e32 v78, 0xbe8c1d8e, v44
	v_mov_b32_e32 v82, v250
	v_add_f32_e32 v78, v78, v9
	v_fmac_f32_e32 v82, 0xbf59a7d5, v46
	v_mul_f32_e32 v85, 0x3f2c7751, v85
	v_add_f32_e32 v78, v82, v78
	v_mov_b32_e32 v82, v85
	v_fmac_f32_e32 v82, 0x3f3d2fb0, v48
	v_mul_f32_e32 v251, 0xbf65296c, v88
	v_add_f32_e32 v78, v82, v78
	v_mov_b32_e32 v82, v251
	;; [unrolled: 4-line block ×4, first 2 shown]
	v_add_f32_e32 v10, v10, v8
	v_fmac_f32_e32 v82, 0x3dbcf732, v54
	v_mul_f32_e32 v110, 0xbeb8f4ab, v110
	v_add_f32_e32 v11, v11, v9
	v_add_f32_e32 v10, v20, v10
	;; [unrolled: 1-line block ×3, first 2 shown]
	v_mov_b32_e32 v82, v110
	v_add_f32_e32 v11, v21, v11
	v_add_f32_e32 v10, v22, v10
	v_fmac_f32_e32 v82, 0x3f6eb680, v60
	v_mul_f32_e32 v120, 0xbf4c4adb, v120
	v_add_f32_e32 v11, v23, v11
	v_add_f32_e32 v10, v24, v10
	v_add_f32_e32 v78, v82, v78
	v_mov_b32_e32 v82, v120
	v_add_f32_e32 v11, v25, v11
	v_add_f32_e32 v10, v26, v10
	v_fmac_f32_e32 v82, 0xbf1a4643, v65
	v_mul_f32_e32 v75, 0xbf763a35, v75
	v_add_f32_e32 v11, v27, v11
	v_add_f32_e32 v10, v28, v10
	v_add_f32_e32 v88, v82, v78
	v_fma_f32 v78, v43, s16, -v75
	v_mul_f32_e32 v252, 0x3f06c442, v79
	v_add_f32_e32 v11, v29, v11
	v_add_f32_e32 v10, v30, v10
	v_add_f32_e32 v78, v78, v8
	v_fma_f32 v79, v45, s17, -v252
	;; [unrolled: 5-line block ×7, first 2 shown]
	v_mul_f32_e32 v111, 0xbf4c4adb, v111
	v_add_f32_e32 v11, v33, v11
	v_add_f32_e32 v10, v34, v10
	v_mul_f32_e32 v150, 0x3f6eb680, v44
	v_mul_f32_e32 v156, 0x3dbcf732, v44
	v_add_f32_e32 v78, v79, v78
	v_fma_f32 v79, v62, s14, -v111
	v_add_f32_e32 v11, v35, v11
	v_add_f32_e32 v10, v36, v10
	v_mul_f32_e32 v158, 0x3f3d2fb0, v46
	v_mul_f32_e32 v164, 0xbf7ba420, v46
	v_add_f32_e32 v87, v79, v78
	v_add_f32_e32 v78, v136, v156
	v_add_f32_e32 v61, v61, v150
	v_add_f32_e32 v11, v37, v11
	v_add_f32_e32 v10, v38, v10
	v_mul_f32_e32 v166, 0x3ee437d1, v48
	v_mul_f32_e32 v172, 0xbe8c1d8e, v48
	v_add_f32_e32 v79, v137, v164
	v_add_f32_e32 v78, v78, v9
	;; [unrolled: 1-line block ×6, first 2 shown]
	v_fma_f32 v10, v44, s15, -v201
	v_fma_f32 v12, v44, s17, -v217
	;; [unrolled: 1-line block ×3, first 2 shown]
	v_mul_f32_e32 v174, 0x3dbcf732, v50
	v_mul_f32_e32 v180, 0x3f6eb680, v50
	v_add_f32_e32 v78, v79, v78
	v_add_f32_e32 v79, v139, v172
	;; [unrolled: 1-line block ×6, first 2 shown]
	v_fma_f32 v11, v46, s4, -v202
	v_add_f32_e32 v12, v12, v9
	v_fma_f32 v13, v46, s10, -v218
	v_add_f32_e32 v14, v14, v9
	v_fma_f32 v15, v46, s16, -v234
	v_mul_f32_e32 v182, 0xbe8c1d8e, v52
	v_mul_f32_e32 v188, 0x3ee437d1, v52
	v_add_f32_e32 v78, v79, v78
	v_add_f32_e32 v79, v140, v180
	;; [unrolled: 1-line block ×5, first 2 shown]
	v_fma_f32 v11, v48, s17, -v203
	v_add_f32_e32 v12, v13, v12
	v_fma_f32 v13, v48, s11, -v219
	v_add_f32_e32 v14, v15, v14
	v_fma_f32 v15, v48, s4, -v235
	v_mul_f32_e32 v190, 0xbf1a4643, v54
	v_mul_f32_e32 v196, 0xbf59a7d5, v54
	v_add_f32_e32 v78, v79, v78
	v_add_f32_e32 v79, v141, v188
	;; [unrolled: 1-line block ×5, first 2 shown]
	v_fma_f32 v11, v50, s5, -v204
	v_add_f32_e32 v12, v13, v12
	v_fma_f32 v13, v50, s14, -v220
	v_add_f32_e32 v14, v15, v14
	v_fma_f32 v15, v50, s17, -v236
	v_mul_f32_e32 v152, 0x3f3d2fb0, v44
	v_mul_f32_e32 v154, 0x3ee437d1, v44
	;; [unrolled: 1-line block ×4, first 2 shown]
	v_add_f32_e32 v78, v79, v78
	v_add_f32_e32 v79, v142, v196
	;; [unrolled: 1-line block ×5, first 2 shown]
	v_fma_f32 v11, v52, s14, -v205
	v_add_f32_e32 v12, v13, v12
	v_fma_f32 v13, v52, s4, -v221
	v_add_f32_e32 v14, v15, v14
	v_fma_f32 v15, v52, s11, -v237
	v_mul_f32_e32 v149, 0x3f6eb680, v43
	v_mul_f32_e32 v139, 0xbf7ba420, v65
	;; [unrolled: 1-line block ×3, first 2 shown]
	v_add_f32_e32 v78, v79, v78
	v_add_f32_e32 v79, v143, v137
	;; [unrolled: 1-line block ×7, first 2 shown]
	v_fma_f32 v11, v54, s10, -v206
	v_add_f32_e32 v12, v13, v12
	v_fma_f32 v13, v54, s15, -v222
	v_add_f32_e32 v14, v15, v14
	v_fma_f32 v15, v54, s5, -v238
	v_fma_f32 v16, v44, s16, -v249
	v_mul_f32_e32 v151, 0x3f3d2fb0, v43
	v_mul_f32_e32 v153, 0x3ee437d1, v43
	;; [unrolled: 1-line block ×4, first 2 shown]
	v_add_f32_e32 v78, v79, v78
	v_add_f32_e32 v79, v144, v142
	;; [unrolled: 1-line block ×6, first 2 shown]
	v_sub_f32_e32 v59, v149, v59
	v_add_f32_e32 v10, v11, v10
	v_fma_f32 v11, v60, s16, -v207
	v_add_f32_e32 v12, v13, v12
	v_fma_f32 v13, v60, s5, -v223
	;; [unrolled: 2-line block ×4, first 2 shown]
	v_mul_f32_e32 v159, 0x3dbcf732, v45
	v_mul_f32_e32 v160, 0x3dbcf732, v46
	;; [unrolled: 1-line block ×6, first 2 shown]
	v_add_f32_e32 v79, v79, v78
	v_sub_f32_e32 v78, v155, v129
	v_sub_f32_e32 v112, v153, v112
	;; [unrolled: 1-line block ×3, first 2 shown]
	v_add_f32_e32 v64, v64, v61
	v_add_f32_e32 v59, v59, v8
	v_sub_f32_e32 v61, v157, v63
	v_add_f32_e32 v10, v11, v10
	v_fma_f32 v11, v65, s11, -v208
	v_fmac_f32_e32 v209, 0xbf7ba420, v43
	v_add_f32_e32 v12, v13, v12
	v_fma_f32 v13, v65, s16, -v224
	v_fmac_f32_e32 v225, 0xbf59a7d5, v43
	v_add_f32_e32 v14, v15, v14
	v_fma_f32 v15, v65, s10, -v240
	v_fmac_f32_e32 v241, 0xbf1a4643, v43
	v_add_f32_e32 v9, v16, v9
	v_fma_f32 v16, v48, s5, -v85
	v_fmac_f32_e32 v75, 0xbe8c1d8e, v43
	v_mul_f32_e32 v167, 0xbf1a4643, v47
	v_mul_f32_e32 v168, 0xbf1a4643, v48
	;; [unrolled: 1-line block ×6, first 2 shown]
	v_add_f32_e32 v78, v78, v8
	v_sub_f32_e32 v129, v163, v130
	v_add_f32_e32 v122, v122, v162
	v_add_f32_e32 v112, v112, v8
	v_sub_f32_e32 v113, v161, v113
	v_add_f32_e32 v97, v97, v160
	;; [unrolled: 3-line block ×3, first 2 shown]
	v_sub_f32_e32 v61, v165, v66
	v_add_f32_e32 v11, v11, v10
	v_add_f32_e32 v10, v209, v8
	v_fmac_f32_e32 v210, 0x3f6eb680, v45
	v_add_f32_e32 v13, v13, v12
	v_add_f32_e32 v12, v225, v8
	v_fmac_f32_e32 v226, 0x3ee437d1, v45
	;; [unrolled: 3-line block ×3, first 2 shown]
	v_add_f32_e32 v9, v16, v9
	v_fma_f32 v16, v50, s10, -v251
	v_add_f32_e32 v8, v75, v8
	v_fmac_f32_e32 v252, 0xbf59a7d5, v45
	v_mul_f32_e32 v175, 0xbf7ba420, v49
	v_mul_f32_e32 v176, 0xbf7ba420, v50
	v_mul_f32_e32 v177, 0xbe8c1d8e, v49
	v_mul_f32_e32 v178, 0xbe8c1d8e, v50
	v_mul_f32_e32 v179, 0x3f6eb680, v49
	v_mul_f32_e32 v181, 0xbe8c1d8e, v51
	v_add_f32_e32 v78, v129, v78
	v_sub_f32_e32 v129, v171, v131
	v_add_f32_e32 v121, v122, v121
	v_add_f32_e32 v122, v123, v170
	v_add_f32_e32 v112, v113, v112
	v_sub_f32_e32 v113, v169, v114
	v_add_f32_e32 v95, v97, v95
	v_add_f32_e32 v97, v100, v168
	v_add_f32_e32 v90, v91, v90
	v_sub_f32_e32 v91, v167, v92
	v_add_f32_e32 v59, v61, v59
	v_sub_f32_e32 v61, v173, v68
	v_add_f32_e32 v10, v210, v10
	v_fmac_f32_e32 v211, 0xbf59a7d5, v47
	v_add_f32_e32 v12, v226, v12
	v_fmac_f32_e32 v227, 0x3dbcf732, v47
	v_add_f32_e32 v14, v242, v14
	v_fmac_f32_e32 v243, 0x3f6eb680, v47
	v_add_f32_e32 v9, v16, v9
	v_fma_f32 v16, v52, s15, -v96
	v_add_f32_e32 v8, v252, v8
	v_fmac_f32_e32 v253, 0x3f3d2fb0, v47
	v_mul_f32_e32 v183, 0xbf59a7d5, v51
	v_mul_f32_e32 v184, 0xbf59a7d5, v52
	v_mul_f32_e32 v185, 0x3f3d2fb0, v51
	v_mul_f32_e32 v186, 0x3f3d2fb0, v52
	v_mul_f32_e32 v187, 0x3ee437d1, v51
	v_mul_f32_e32 v189, 0xbf1a4643, v53
	v_add_f32_e32 v78, v129, v78
	v_sub_f32_e32 v129, v179, v132
	v_add_f32_e32 v121, v122, v121
	v_add_f32_e32 v122, v124, v178
	v_add_f32_e32 v112, v113, v112
	v_sub_f32_e32 v113, v177, v115
	v_add_f32_e32 v95, v97, v95
	v_add_f32_e32 v97, v102, v176
	v_add_f32_e32 v90, v91, v90
	v_sub_f32_e32 v91, v175, v93
	v_add_f32_e32 v59, v61, v59
	v_sub_f32_e32 v61, v181, v70
	v_add_f32_e32 v10, v211, v10
	v_fmac_f32_e32 v212, 0x3f3d2fb0, v49
	v_add_f32_e32 v12, v227, v12
	v_fmac_f32_e32 v228, 0xbf1a4643, v49
	v_add_f32_e32 v14, v243, v14
	v_fmac_f32_e32 v244, 0xbf59a7d5, v49
	;; [unrolled: 28-line block ×4, first 2 shown]
	v_add_f32_e32 v9, v16, v9
	v_fma_f32 v16, v65, s14, -v120
	v_add_f32_e32 v8, v89, v8
	v_fmac_f32_e32 v99, 0x3dbcf732, v53
	v_mul_f32_e32 v164, 0x3f6eb680, v62
	v_mul_f32_e32 v140, 0x3f6eb680, v65
	;; [unrolled: 1-line block ×5, first 2 shown]
	v_add_f32_e32 v78, v129, v78
	v_sub_f32_e32 v129, v136, v135
	v_add_f32_e32 v121, v122, v121
	v_add_f32_e32 v83, v127, v83
	;; [unrolled: 1-line block ×3, first 2 shown]
	v_sub_f32_e32 v82, v82, v118
	v_add_f32_e32 v95, v97, v95
	v_add_f32_e32 v97, v106, v200
	;; [unrolled: 1-line block ×3, first 2 shown]
	v_sub_f32_e32 v91, v199, v101
	v_add_f32_e32 v59, v61, v59
	v_sub_f32_e32 v61, v156, v84
	v_add_f32_e32 v10, v214, v10
	v_fmac_f32_e32 v215, 0xbe8c1d8e, v55
	v_add_f32_e32 v12, v230, v12
	v_fmac_f32_e32 v231, 0x3f3d2fb0, v55
	;; [unrolled: 2-line block ×3, first 2 shown]
	v_add_f32_e32 v9, v16, v9
	v_add_f32_e32 v8, v99, v8
	v_fmac_f32_e32 v109, 0x3f6eb680, v55
	v_mul_lo_u16_e32 v16, 17, v71
	v_add_f32_e32 v78, v129, v78
	v_sub_f32_e32 v129, v180, v138
	v_add_f32_e32 v83, v83, v121
	v_add_f32_e32 v121, v128, v141
	v_add_f32_e32 v82, v82, v112
	v_sub_f32_e32 v112, v172, v119
	v_add_f32_e32 v95, v97, v95
	v_add_f32_e32 v97, v108, v140
	v_add_f32_e32 v90, v91, v90
	v_sub_f32_e32 v91, v164, v103
	v_add_f32_e32 v63, v61, v59
	v_add_f32_e32 v10, v215, v10
	v_fmac_f32_e32 v216, 0x3dbcf732, v62
	v_add_f32_e32 v12, v231, v12
	v_fmac_f32_e32 v232, 0xbe8c1d8e, v62
	v_add_f32_e32 v14, v247, v14
	;; [unrolled: 2-line block ×3, first 2 shown]
	v_fmac_f32_e32 v111, 0xbf1a4643, v62
	v_add_lshl_u32 v16, v42, v16, 3
	v_add_f32_e32 v78, v129, v78
	v_add_f32_e32 v83, v121, v83
	;; [unrolled: 1-line block ×9, first 2 shown]
	ds_write2_b64 v16, v[4:5], v[63:64] offset1:1
	ds_write2_b64 v16, v[94:95], v[82:83] offset0:2 offset1:3
	ds_write2_b64 v16, v[78:79], v[87:88] offset0:4 offset1:5
	;; [unrolled: 1-line block ×7, first 2 shown]
	ds_write_b64 v16, v[57:58] offset:128
.LBB0_7:
	s_or_b64 exec, exec, s[2:3]
	v_mul_u32_u24_e32 v4, 12, v71
	v_lshlrev_b32_e32 v4, 3, v4
	s_load_dwordx4 s[0:3], s[0:1], 0x0
	s_waitcnt lgkmcnt(0)
	s_barrier
	global_load_dwordx4 v[24:27], v4, s[8:9]
	global_load_dwordx4 v[16:19], v4, s[8:9] offset:16
	global_load_dwordx4 v[12:15], v4, s[8:9] offset:32
	;; [unrolled: 1-line block ×5, first 2 shown]
	v_add_lshl_u32 v75, v42, v71, 3
	ds_read2_b64 v[34:37], v75 offset1:17
	ds_read2_b64 v[38:41], v75 offset0:34 offset1:51
	ds_read2_b64 v[42:45], v75 offset0:68 offset1:85
	;; [unrolled: 1-line block ×5, first 2 shown]
	ds_read_b64 v[4:5], v75 offset:1632
	s_mov_b32 s8, 0x3f62ad3f
	s_mov_b32 s5, 0x3f116cb1
	;; [unrolled: 1-line block ×6, first 2 shown]
	s_waitcnt vmcnt(5) lgkmcnt(6)
	v_mul_f32_e32 v32, v37, v25
	v_mul_f32_e32 v33, v36, v25
	s_waitcnt lgkmcnt(5)
	v_mul_f32_e32 v54, v39, v27
	v_mul_f32_e32 v55, v38, v27
	s_waitcnt vmcnt(4)
	v_mul_f32_e32 v63, v41, v17
	s_waitcnt vmcnt(3) lgkmcnt(3)
	v_mul_f32_e32 v69, v47, v15
	s_waitcnt vmcnt(0) lgkmcnt(0)
	v_mul_f32_e32 v85, v5, v23
	v_mul_f32_e32 v86, v4, v23
	v_fma_f32 v32, v36, v24, -v32
	v_fmac_f32_e32 v33, v37, v24
	v_mul_f32_e32 v64, v40, v17
	v_mul_f32_e32 v70, v46, v15
	;; [unrolled: 1-line block ×3, first 2 shown]
	v_fma_f32 v36, v38, v26, -v54
	v_fmac_f32_e32 v55, v39, v26
	v_fma_f32 v37, v40, v16, -v63
	v_fma_f32 v40, v46, v14, -v69
	;; [unrolled: 1-line block ×3, first 2 shown]
	v_fmac_f32_e32 v86, v5, v22
	v_add_f32_e32 v5, v34, v32
	v_add_f32_e32 v46, v35, v33
	v_mul_f32_e32 v65, v43, v19
	v_mul_f32_e32 v66, v42, v19
	;; [unrolled: 1-line block ×3, first 2 shown]
	v_fmac_f32_e32 v64, v41, v16
	v_fmac_f32_e32 v70, v47, v14
	;; [unrolled: 1-line block ×3, first 2 shown]
	v_add_f32_e32 v47, v32, v4
	v_sub_f32_e32 v49, v32, v4
	v_add_f32_e32 v5, v5, v36
	v_add_f32_e32 v32, v46, v55
	v_mul_f32_e32 v67, v45, v13
	v_mul_f32_e32 v68, v44, v13
	v_fma_f32 v38, v42, v18, -v65
	v_fmac_f32_e32 v66, v43, v18
	v_add_f32_e32 v5, v5, v37
	v_add_f32_e32 v32, v32, v64
	v_fma_f32 v39, v44, v12, -v67
	v_fmac_f32_e32 v68, v45, v12
	v_add_f32_e32 v5, v5, v38
	v_add_f32_e32 v32, v32, v66
	;; [unrolled: 1-line block ×4, first 2 shown]
	v_mul_f32_e32 v77, v51, v11
	v_mul_f32_e32 v78, v50, v11
	v_fma_f32 v41, v48, v8, -v74
	v_add_f32_e32 v5, v5, v40
	v_add_f32_e32 v32, v32, v70
	v_mul_f32_e32 v79, v53, v29
	v_mul_f32_e32 v80, v52, v29
	v_fma_f32 v42, v50, v10, -v77
	v_fmac_f32_e32 v78, v51, v10
	v_add_f32_e32 v5, v5, v41
	v_add_f32_e32 v32, v32, v76
	v_mul_f32_e32 v81, v60, v31
	v_mul_f32_e32 v82, v59, v31
	v_fma_f32 v43, v52, v28, -v79
	v_fmac_f32_e32 v80, v53, v28
	;; [unrolled: 6-line block ×3, first 2 shown]
	v_add_f32_e32 v5, v5, v43
	v_add_f32_e32 v32, v32, v80
	v_fma_f32 v45, v61, v20, -v83
	v_fmac_f32_e32 v84, v62, v20
	v_add_f32_e32 v5, v5, v44
	v_add_f32_e32 v32, v32, v82
	;; [unrolled: 1-line block ×3, first 2 shown]
	v_sub_f32_e32 v50, v33, v86
	v_add_f32_e32 v5, v5, v45
	v_add_f32_e32 v33, v32, v84
	v_mul_f32_e32 v46, 0xbeedf032, v49
	v_mul_f32_e32 v54, 0xbf52af12, v49
	;; [unrolled: 1-line block ×6, first 2 shown]
	v_add_f32_e32 v32, v5, v4
	v_add_f32_e32 v33, v33, v86
	v_mul_f32_e32 v4, 0xbeedf032, v50
	v_mov_b32_e32 v51, v46
	v_mul_f32_e32 v52, 0xbf52af12, v50
	v_mov_b32_e32 v59, v54
	;; [unrolled: 2-line block ×6, first 2 shown]
	v_fma_f32 v5, v47, s8, -v4
	v_fmac_f32_e32 v51, 0x3f62ad3f, v48
	v_fmac_f32_e32 v4, 0x3f62ad3f, v47
	v_fma_f32 v46, v48, s8, -v46
	v_fma_f32 v53, v47, s5, -v52
	v_fmac_f32_e32 v59, 0x3f116cb1, v48
	v_fmac_f32_e32 v52, 0x3f116cb1, v47
	v_fma_f32 v54, v48, s5, -v54
	v_fma_f32 v61, v47, s4, -v60
	v_fmac_f32_e32 v63, 0x3df6dbef, v48
	v_fmac_f32_e32 v60, 0x3df6dbef, v47
	v_fma_f32 v62, v48, s4, -v62
	v_fma_f32 v67, v47, s9, -v65
	v_fmac_f32_e32 v74, 0xbeb58ec6, v48
	v_fmac_f32_e32 v65, 0xbeb58ec6, v47
	v_fma_f32 v69, v48, s9, -v69
	v_fma_f32 v79, v47, s10, -v77
	v_fmac_f32_e32 v83, 0xbf3f9e67, v48
	v_fmac_f32_e32 v77, 0xbf3f9e67, v47
	v_fma_f32 v81, v48, s10, -v81
	v_fma_f32 v85, v47, s11, -v50
	v_fmac_f32_e32 v86, 0xbf788fa5, v48
	v_fmac_f32_e32 v50, 0xbf788fa5, v47
	v_fma_f32 v47, v48, s11, -v49
	v_add_f32_e32 v51, v35, v51
	v_add_f32_e32 v46, v35, v46
	;; [unrolled: 1-line block ×13, first 2 shown]
	v_sub_f32_e32 v36, v36, v45
	v_sub_f32_e32 v45, v55, v84
	v_mul_f32_e32 v49, 0xbf52af12, v45
	v_add_f32_e32 v5, v34, v5
	v_add_f32_e32 v4, v34, v4
	;; [unrolled: 1-line block ×12, first 2 shown]
	v_fma_f32 v50, v47, s5, -v49
	v_add_f32_e32 v48, v55, v84
	v_add_f32_e32 v5, v50, v5
	v_mul_f32_e32 v50, 0xbf52af12, v36
	v_fmac_f32_e32 v49, 0x3f116cb1, v47
	v_add_f32_e32 v4, v49, v4
	v_fma_f32 v49, v48, s5, -v50
	v_add_f32_e32 v46, v49, v46
	v_mul_f32_e32 v49, 0xbf6f5d39, v45
	v_mov_b32_e32 v55, v50
	v_fma_f32 v50, v47, s9, -v49
	v_fmac_f32_e32 v55, 0x3f116cb1, v48
	v_add_f32_e32 v50, v50, v53
	v_mul_f32_e32 v53, 0xbf6f5d39, v36
	v_add_f32_e32 v51, v55, v51
	v_mov_b32_e32 v55, v53
	v_fmac_f32_e32 v49, 0xbeb58ec6, v47
	v_fmac_f32_e32 v55, 0xbeb58ec6, v48
	v_add_f32_e32 v49, v49, v52
	v_fma_f32 v52, v48, s9, -v53
	v_mul_f32_e32 v53, 0xbe750f2a, v45
	v_add_f32_e32 v55, v55, v59
	v_add_f32_e32 v52, v52, v54
	v_fma_f32 v54, v47, s11, -v53
	v_mul_f32_e32 v59, 0xbe750f2a, v36
	v_add_f32_e32 v54, v54, v61
	v_mov_b32_e32 v61, v59
	v_fmac_f32_e32 v53, 0xbf788fa5, v47
	v_fmac_f32_e32 v61, 0xbf788fa5, v48
	v_add_f32_e32 v53, v53, v60
	v_fma_f32 v59, v48, s11, -v59
	v_mul_f32_e32 v60, 0x3f29c268, v45
	v_add_f32_e32 v61, v61, v63
	v_add_f32_e32 v59, v59, v62
	v_fma_f32 v62, v47, s10, -v60
	;; [unrolled: 11-line block ×3, first 2 shown]
	v_mul_f32_e32 v74, 0x3f7e222b, v36
	v_add_f32_e32 v69, v69, v79
	v_mov_b32_e32 v79, v74
	v_fma_f32 v74, v48, s4, -v74
	v_mul_f32_e32 v36, 0x3eedf032, v36
	v_add_f32_e32 v74, v74, v81
	v_mov_b32_e32 v81, v36
	v_fma_f32 v36, v48, s8, -v36
	v_fmac_f32_e32 v65, 0x3df6dbef, v47
	v_mul_f32_e32 v45, 0x3eedf032, v45
	v_add_f32_e32 v35, v36, v35
	v_add_f32_e32 v36, v37, v44
	v_sub_f32_e32 v37, v37, v44
	v_sub_f32_e32 v44, v64, v82
	v_add_f32_e32 v65, v65, v77
	v_fma_f32 v77, v47, s8, -v45
	v_fmac_f32_e32 v45, 0x3f62ad3f, v47
	v_mul_f32_e32 v47, 0xbf7e222b, v44
	v_fmac_f32_e32 v79, 0x3df6dbef, v48
	v_fmac_f32_e32 v81, 0x3f62ad3f, v48
	v_fma_f32 v48, v36, s4, -v47
	v_add_f32_e32 v34, v45, v34
	v_add_f32_e32 v45, v64, v82
	;; [unrolled: 1-line block ×3, first 2 shown]
	v_mul_f32_e32 v48, 0xbf7e222b, v37
	v_fmac_f32_e32 v47, 0x3df6dbef, v36
	v_add_f32_e32 v4, v47, v4
	v_fma_f32 v47, v45, s4, -v48
	v_add_f32_e32 v46, v47, v46
	v_mul_f32_e32 v47, 0xbe750f2a, v44
	v_mov_b32_e32 v64, v48
	v_fma_f32 v48, v36, s11, -v47
	v_fmac_f32_e32 v64, 0x3df6dbef, v45
	v_add_f32_e32 v48, v48, v50
	v_mul_f32_e32 v50, 0xbe750f2a, v37
	v_fmac_f32_e32 v47, 0xbf788fa5, v36
	v_add_f32_e32 v51, v64, v51
	v_mov_b32_e32 v64, v50
	v_add_f32_e32 v47, v47, v49
	v_fma_f32 v49, v45, s11, -v50
	v_mul_f32_e32 v50, 0x3f6f5d39, v44
	v_add_f32_e32 v49, v49, v52
	v_fma_f32 v52, v36, s9, -v50
	v_fmac_f32_e32 v64, 0xbf788fa5, v45
	v_add_f32_e32 v52, v52, v54
	v_mul_f32_e32 v54, 0x3f6f5d39, v37
	v_fmac_f32_e32 v50, 0xbeb58ec6, v36
	v_add_f32_e32 v55, v64, v55
	v_mov_b32_e32 v64, v54
	v_add_f32_e32 v50, v50, v53
	v_fma_f32 v53, v45, s9, -v54
	v_mul_f32_e32 v54, 0x3eedf032, v44
	v_add_f32_e32 v53, v53, v59
	v_fma_f32 v59, v36, s8, -v54
	v_fmac_f32_e32 v64, 0xbeb58ec6, v45
	v_add_f32_e32 v59, v59, v62
	v_mul_f32_e32 v62, 0x3eedf032, v37
	v_add_f32_e32 v61, v64, v61
	v_mov_b32_e32 v64, v62
	v_fmac_f32_e32 v54, 0x3f62ad3f, v36
	v_fmac_f32_e32 v64, 0x3f62ad3f, v45
	v_add_f32_e32 v54, v54, v60
	v_fma_f32 v60, v45, s8, -v62
	v_mul_f32_e32 v62, 0xbf52af12, v44
	v_add_f32_e32 v64, v64, v67
	v_add_f32_e32 v60, v60, v63
	v_fma_f32 v63, v36, s5, -v62
	v_mul_f32_e32 v67, 0xbf52af12, v37
	v_fmac_f32_e32 v62, 0x3f116cb1, v36
	v_mul_f32_e32 v44, 0xbf29c268, v44
	v_mul_f32_e32 v37, 0xbf29c268, v37
	v_add_f32_e32 v63, v63, v69
	v_mov_b32_e32 v69, v67
	v_add_f32_e32 v62, v62, v65
	v_fma_f32 v65, v45, s5, -v67
	v_fma_f32 v67, v36, s10, -v44
	v_fmac_f32_e32 v44, 0xbf3f9e67, v36
	v_fma_f32 v36, v45, s10, -v37
	v_add_f32_e32 v35, v36, v35
	v_add_f32_e32 v36, v38, v43
	v_sub_f32_e32 v38, v38, v43
	v_sub_f32_e32 v43, v66, v80
	v_add_f32_e32 v65, v65, v74
	v_mov_b32_e32 v74, v37
	v_add_f32_e32 v34, v44, v34
	v_mul_f32_e32 v44, 0xbf6f5d39, v43
	v_fmac_f32_e32 v69, 0x3f116cb1, v45
	v_fmac_f32_e32 v74, 0xbf3f9e67, v45
	v_fma_f32 v45, v36, s9, -v44
	v_add_f32_e32 v37, v66, v80
	v_add_f32_e32 v5, v45, v5
	v_mul_f32_e32 v45, 0xbf6f5d39, v38
	v_fmac_f32_e32 v44, 0xbeb58ec6, v36
	v_mov_b32_e32 v66, v45
	v_add_f32_e32 v4, v44, v4
	v_fma_f32 v44, v37, s9, -v45
	v_mul_f32_e32 v45, 0x3f29c268, v43
	v_add_f32_e32 v44, v44, v46
	v_fma_f32 v46, v36, s10, -v45
	v_fmac_f32_e32 v66, 0xbeb58ec6, v37
	v_add_f32_e32 v46, v46, v48
	v_mul_f32_e32 v48, 0x3f29c268, v38
	v_fmac_f32_e32 v45, 0xbf3f9e67, v36
	v_add_f32_e32 v51, v66, v51
	v_mov_b32_e32 v66, v48
	v_add_f32_e32 v45, v45, v47
	v_fma_f32 v47, v37, s10, -v48
	v_mul_f32_e32 v48, 0x3eedf032, v43
	v_add_f32_e32 v47, v47, v49
	v_fma_f32 v49, v36, s8, -v48
	v_fmac_f32_e32 v66, 0xbf3f9e67, v37
	v_add_f32_e32 v49, v49, v52
	v_mul_f32_e32 v52, 0x3eedf032, v38
	v_fmac_f32_e32 v48, 0x3f62ad3f, v36
	v_add_f32_e32 v55, v66, v55
	;; [unrolled: 11-line block ×3, first 2 shown]
	v_mov_b32_e32 v66, v59
	v_add_f32_e32 v52, v52, v54
	v_fma_f32 v54, v37, s4, -v59
	v_mul_f32_e32 v59, 0x3e750f2a, v43
	v_add_f32_e32 v54, v54, v60
	v_fma_f32 v60, v36, s11, -v59
	v_fmac_f32_e32 v66, 0x3df6dbef, v37
	v_add_f32_e32 v60, v60, v63
	v_mul_f32_e32 v63, 0x3e750f2a, v38
	v_fmac_f32_e32 v59, 0xbf788fa5, v36
	v_mul_f32_e32 v43, 0x3f52af12, v43
	v_mul_f32_e32 v38, 0x3f52af12, v38
	v_add_f32_e32 v64, v66, v64
	v_mov_b32_e32 v66, v63
	v_add_f32_e32 v59, v59, v62
	v_fma_f32 v62, v37, s11, -v63
	v_fma_f32 v63, v36, s5, -v43
	v_fmac_f32_e32 v43, 0x3f116cb1, v36
	v_fma_f32 v36, v37, s5, -v38
	v_add_f32_e32 v62, v62, v65
	v_mov_b32_e32 v65, v38
	v_add_f32_e32 v35, v36, v35
	v_add_f32_e32 v36, v39, v42
	v_sub_f32_e32 v38, v39, v42
	v_sub_f32_e32 v39, v68, v78
	v_mul_f32_e32 v42, 0xbf29c268, v39
	v_add_f32_e32 v77, v77, v85
	v_add_f32_e32 v34, v43, v34
	v_fma_f32 v43, v36, s10, -v42
	v_add_f32_e32 v67, v67, v77
	v_fmac_f32_e32 v66, 0xbf788fa5, v37
	v_fmac_f32_e32 v65, 0x3f116cb1, v37
	v_add_f32_e32 v37, v68, v78
	v_add_f32_e32 v5, v43, v5
	v_mul_f32_e32 v43, 0xbf29c268, v38
	v_fmac_f32_e32 v42, 0xbf3f9e67, v36
	v_add_f32_e32 v63, v63, v67
	v_mov_b32_e32 v67, v43
	v_add_f32_e32 v4, v42, v4
	v_fma_f32 v42, v37, s10, -v43
	v_mul_f32_e32 v43, 0x3f7e222b, v39
	v_add_f32_e32 v42, v42, v44
	v_fma_f32 v44, v36, s4, -v43
	v_fmac_f32_e32 v67, 0xbf3f9e67, v37
	v_add_f32_e32 v44, v44, v46
	v_mul_f32_e32 v46, 0x3f7e222b, v38
	v_fmac_f32_e32 v43, 0x3df6dbef, v36
	v_add_f32_e32 v51, v67, v51
	v_mov_b32_e32 v67, v46
	v_add_f32_e32 v43, v43, v45
	v_fma_f32 v45, v37, s4, -v46
	v_mul_f32_e32 v46, 0xbf52af12, v39
	v_add_f32_e32 v45, v45, v47
	v_fma_f32 v47, v36, s5, -v46
	v_fmac_f32_e32 v67, 0x3df6dbef, v37
	v_add_f32_e32 v47, v47, v49
	v_mul_f32_e32 v49, 0xbf52af12, v38
	v_fmac_f32_e32 v46, 0x3f116cb1, v36
	v_add_f32_e32 v55, v67, v55
	v_mov_b32_e32 v67, v49
	v_add_f32_e32 v46, v46, v48
	v_fma_f32 v48, v37, s5, -v49
	v_mul_f32_e32 v49, 0x3e750f2a, v39
	v_add_f32_e32 v48, v48, v50
	v_fma_f32 v50, v36, s11, -v49
	v_fmac_f32_e32 v67, 0x3f116cb1, v37
	v_add_f32_e32 v50, v50, v53
	v_mul_f32_e32 v53, 0x3e750f2a, v38
	v_fmac_f32_e32 v49, 0xbf788fa5, v36
	v_add_f32_e32 v61, v67, v61
	v_mov_b32_e32 v67, v53
	v_add_f32_e32 v49, v49, v52
	v_fma_f32 v52, v37, s11, -v53
	v_mul_f32_e32 v53, 0x3eedf032, v39
	v_add_f32_e32 v52, v52, v54
	v_fma_f32 v54, v36, s8, -v53
	v_add_f32_e32 v79, v79, v83
	v_fmac_f32_e32 v67, 0xbf788fa5, v37
	v_add_f32_e32 v54, v54, v60
	v_mul_f32_e32 v60, 0x3eedf032, v38
	v_fmac_f32_e32 v53, 0x3f62ad3f, v36
	v_add_f32_e32 v81, v81, v86
	v_add_f32_e32 v69, v69, v79
	;; [unrolled: 1-line block ×3, first 2 shown]
	v_mov_b32_e32 v67, v60
	v_add_f32_e32 v53, v53, v59
	v_fma_f32 v59, v37, s8, -v60
	v_mul_f32_e32 v39, 0xbf6f5d39, v39
	v_mul_f32_e32 v38, 0xbf6f5d39, v38
	v_add_f32_e32 v74, v74, v81
	v_add_f32_e32 v66, v66, v69
	v_fmac_f32_e32 v67, 0x3f62ad3f, v37
	v_add_f32_e32 v59, v59, v62
	v_fma_f32 v60, v36, s9, -v39
	v_mov_b32_e32 v62, v38
	v_fmac_f32_e32 v39, 0xbeb58ec6, v36
	v_add_f32_e32 v68, v70, v76
	v_sub_f32_e32 v70, v70, v76
	v_add_f32_e32 v65, v65, v74
	v_add_f32_e32 v66, v67, v66
	;; [unrolled: 1-line block ×3, first 2 shown]
	v_fmac_f32_e32 v62, 0xbeb58ec6, v37
	v_add_f32_e32 v63, v39, v34
	v_fma_f32 v34, v37, s9, -v38
	v_add_f32_e32 v67, v40, v41
	v_mul_f32_e32 v36, 0xbe750f2a, v70
	v_add_f32_e32 v62, v62, v65
	v_add_f32_e32 v65, v34, v35
	v_sub_f32_e32 v69, v40, v41
	v_fma_f32 v34, v67, s11, -v36
	v_add_f32_e32 v34, v34, v5
	v_mul_f32_e32 v5, 0xbe750f2a, v69
	v_fmac_f32_e32 v36, 0xbf788fa5, v67
	v_mul_f32_e32 v38, 0x3eedf032, v70
	v_mov_b32_e32 v35, v5
	v_add_f32_e32 v4, v36, v4
	v_fma_f32 v5, v68, s11, -v5
	v_fma_f32 v36, v67, s8, -v38
	v_mul_f32_e32 v39, 0x3eedf032, v69
	v_fmac_f32_e32 v38, 0x3f62ad3f, v67
	v_add_f32_e32 v5, v5, v42
	v_add_f32_e32 v42, v38, v43
	v_fma_f32 v38, v68, s8, -v39
	v_mul_f32_e32 v40, 0xbf29c268, v70
	v_add_f32_e32 v43, v38, v45
	v_fma_f32 v38, v67, s10, -v40
	v_fmac_f32_e32 v40, 0xbf3f9e67, v67
	v_mul_f32_e32 v41, 0xbf29c268, v69
	v_add_f32_e32 v40, v40, v46
	v_mul_f32_e32 v46, 0x3f52af12, v70
	v_add_f32_e32 v36, v36, v44
	v_mov_b32_e32 v37, v39
	v_add_f32_e32 v38, v38, v47
	v_mov_b32_e32 v39, v41
	v_fma_f32 v41, v68, s10, -v41
	v_fma_f32 v44, v67, s5, -v46
	v_mul_f32_e32 v47, 0x3f52af12, v69
	v_fmac_f32_e32 v46, 0x3f116cb1, v67
	v_fmac_f32_e32 v35, 0xbf788fa5, v68
	;; [unrolled: 1-line block ×3, first 2 shown]
	v_add_f32_e32 v41, v41, v48
	v_add_f32_e32 v44, v44, v50
	;; [unrolled: 1-line block ×3, first 2 shown]
	v_fma_f32 v46, v68, s5, -v47
	v_mul_f32_e32 v48, 0xbf6f5d39, v70
	v_add_f32_e32 v35, v35, v51
	v_add_f32_e32 v37, v37, v55
	;; [unrolled: 1-line block ×3, first 2 shown]
	v_fma_f32 v46, v67, s9, -v48
	v_mul_f32_e32 v49, 0xbf6f5d39, v69
	v_fmac_f32_e32 v48, 0xbeb58ec6, v67
	v_mul_f32_e32 v55, 0x3f7e222b, v69
	v_mov_b32_e32 v45, v47
	v_add_f32_e32 v46, v46, v54
	v_mov_b32_e32 v47, v49
	v_add_f32_e32 v48, v48, v53
	v_mul_f32_e32 v54, 0x3f7e222b, v70
	v_mov_b32_e32 v53, v55
	v_fmac_f32_e32 v39, 0xbf3f9e67, v68
	v_fmac_f32_e32 v45, 0x3f116cb1, v68
	;; [unrolled: 1-line block ×3, first 2 shown]
	v_fma_f32 v49, v68, s9, -v49
	v_fma_f32 v52, v67, s4, -v54
	v_fmac_f32_e32 v53, 0x3df6dbef, v68
	v_fmac_f32_e32 v54, 0x3df6dbef, v67
	v_fma_f32 v55, v68, s4, -v55
	v_add_f32_e32 v39, v39, v61
	v_add_f32_e32 v45, v45, v64
	;; [unrolled: 1-line block ×8, first 2 shown]
	v_lshl_add_u32 v74, v71, 3, v73
	ds_write2_b64 v74, v[32:33], v[34:35] offset1:17
	ds_write2_b64 v74, v[36:37], v[38:39] offset0:34 offset1:51
	ds_write2_b64 v74, v[44:45], v[46:47] offset0:68 offset1:85
	;; [unrolled: 1-line block ×5, first 2 shown]
	ds_write_b64 v74, v[4:5] offset:1632
	s_waitcnt lgkmcnt(0)
	s_barrier
	s_and_saveexec_b64 s[4:5], vcc
	s_cbranch_execz .LBB0_9
; %bb.8:
	global_load_dwordx2 v[92:93], v72, s[6:7] offset:1768
	s_add_u32 s8, s6, 0x6e8
	s_addc_u32 s9, s7, 0
	global_load_dwordx2 v[94:95], v72, s[8:9] offset:104
	global_load_dwordx2 v[96:97], v72, s[8:9] offset:208
	;; [unrolled: 1-line block ×15, first 2 shown]
	ds_read2_b64 v[59:62], v74 offset1:13
	ds_read2_b64 v[63:66], v74 offset0:26 offset1:39
	global_load_dwordx2 v[124:125], v72, s[8:9] offset:1664
	ds_read2_b64 v[67:70], v74 offset0:52 offset1:65
	ds_read2_b64 v[76:79], v74 offset0:78 offset1:91
	;; [unrolled: 1-line block ×5, first 2 shown]
	s_waitcnt vmcnt(13) lgkmcnt(5)
	v_mul_f32_e32 v128, v66, v99
	s_waitcnt vmcnt(12) lgkmcnt(4)
	v_mul_f32_e32 v129, v68, v101
	s_waitcnt vmcnt(11)
	v_mul_f32_e32 v130, v70, v103
	s_waitcnt vmcnt(10) lgkmcnt(3)
	v_mul_f32_e32 v131, v77, v105
	s_waitcnt vmcnt(9)
	;; [unrolled: 4-line block ×4, first 2 shown]
	v_mul_f32_e32 v136, v87, v115
	v_mul_f32_e32 v126, v60, v93
	;; [unrolled: 1-line block ×3, first 2 shown]
	v_fma_f32 v126, v59, v92, -v126
	v_fmac_f32_e32 v127, v60, v92
	v_mul_f32_e32 v59, v62, v95
	v_mul_f32_e32 v60, v61, v95
	;; [unrolled: 1-line block ×13, first 2 shown]
	v_fma_f32 v59, v61, v94, -v59
	v_fmac_f32_e32 v60, v62, v94
	v_fma_f32 v92, v63, v96, -v92
	v_fmac_f32_e32 v93, v64, v96
	;; [unrolled: 2-line block ×11, first 2 shown]
	ds_write2_b64 v74, v[126:127], v[59:60] offset1:13
	ds_write2_b64 v74, v[92:93], v[94:95] offset0:26 offset1:39
	ds_write2_b64 v74, v[96:97], v[98:99] offset0:52 offset1:65
	;; [unrolled: 1-line block ×5, first 2 shown]
	ds_read2_b64 v[59:62], v74 offset0:182 offset1:195
	s_waitcnt vmcnt(4) lgkmcnt(7)
	v_mul_f32_e32 v115, v89, v117
	v_mul_f32_e32 v113, v88, v117
	s_waitcnt vmcnt(3)
	v_mul_f32_e32 v117, v91, v119
	v_mul_f32_e32 v64, v90, v119
	v_fma_f32 v112, v88, v116, -v115
	v_fmac_f32_e32 v113, v89, v116
	v_fma_f32 v63, v90, v118, -v117
	v_fmac_f32_e32 v64, v91, v118
	ds_write2_b64 v74, v[112:113], v[63:64] offset0:156 offset1:169
	s_waitcnt vmcnt(2) lgkmcnt(1)
	v_mul_f32_e32 v63, v60, v121
	v_mul_f32_e32 v64, v59, v121
	v_fma_f32 v63, v59, v120, -v63
	v_fmac_f32_e32 v64, v60, v120
	ds_read_b64 v[59:60], v74 offset:1664
	s_waitcnt vmcnt(1)
	v_mul_f32_e32 v65, v62, v123
	v_mul_f32_e32 v66, v61, v123
	v_fma_f32 v65, v61, v122, -v65
	v_fmac_f32_e32 v66, v62, v122
	s_waitcnt vmcnt(0) lgkmcnt(0)
	v_mul_f32_e32 v61, v60, v125
	v_mul_f32_e32 v62, v59, v125
	v_fma_f32 v61, v59, v124, -v61
	v_fmac_f32_e32 v62, v60, v124
	ds_write2_b64 v74, v[63:64], v[65:66] offset0:182 offset1:195
	ds_write_b64 v74, v[61:62] offset:1664
.LBB0_9:
	s_or_b64 exec, exec, s[4:5]
	s_waitcnt lgkmcnt(0)
	s_barrier
	s_and_saveexec_b64 s[4:5], vcc
	s_cbranch_execz .LBB0_11
; %bb.10:
	ds_read2_b64 v[32:35], v74 offset1:13
	ds_read2_b64 v[36:39], v74 offset0:26 offset1:39
	ds_read2_b64 v[44:47], v74 offset0:52 offset1:65
	;; [unrolled: 1-line block ×7, first 2 shown]
	ds_read_b64 v[57:58], v74 offset:1664
.LBB0_11:
	s_or_b64 exec, exec, s[4:5]
	s_waitcnt lgkmcnt(0)
	s_barrier
	s_and_saveexec_b64 s[4:5], vcc
	s_cbranch_execz .LBB0_13
; %bb.12:
	v_add_f32_e32 v118, v58, v35
	v_mul_f32_e32 v92, 0xbf7ba420, v118
	v_add_f32_e32 v119, v3, v37
	v_sub_f32_e32 v76, v34, v57
	v_mov_b32_e32 v59, v92
	v_mul_f32_e32 v93, 0x3f6eb680, v119
	v_fmac_f32_e32 v59, 0x3e3c28d5, v76
	v_sub_f32_e32 v77, v36, v2
	v_mov_b32_e32 v60, v93
	v_add_f32_e32 v120, v1, v39
	v_add_f32_e32 v59, v33, v59
	v_fmac_f32_e32 v60, 0xbeb8f4ab, v77
	v_mul_f32_e32 v94, 0xbf59a7d5, v120
	v_add_f32_e32 v59, v60, v59
	v_sub_f32_e32 v78, v38, v0
	v_mov_b32_e32 v60, v94
	v_add_f32_e32 v121, v7, v45
	v_fmac_f32_e32 v60, 0x3f06c442, v78
	v_mul_f32_e32 v95, 0x3f3d2fb0, v121
	v_add_f32_e32 v59, v60, v59
	v_sub_f32_e32 v79, v44, v6
	v_mov_b32_e32 v60, v95
	;; [unrolled: 6-line block ×6, first 2 shown]
	v_sub_f32_e32 v126, v35, v58
	v_fmac_f32_e32 v60, 0xbf7ee86f, v83
	v_mul_f32_e32 v100, 0xbe3c28d5, v126
	v_sub_f32_e32 v127, v37, v3
	v_add_f32_e32 v60, v60, v59
	v_add_f32_e32 v84, v57, v34
	v_mov_b32_e32 v59, v100
	v_mul_f32_e32 v101, 0x3eb8f4ab, v127
	v_fmac_f32_e32 v59, 0xbf7ba420, v84
	v_add_f32_e32 v85, v2, v36
	v_mov_b32_e32 v61, v101
	v_sub_f32_e32 v128, v39, v1
	v_add_f32_e32 v59, v32, v59
	v_fmac_f32_e32 v61, 0x3f6eb680, v85
	v_mul_f32_e32 v102, 0xbf06c442, v128
	v_add_f32_e32 v59, v61, v59
	v_add_f32_e32 v86, v0, v38
	v_mov_b32_e32 v61, v102
	v_sub_f32_e32 v129, v45, v7
	v_fmac_f32_e32 v61, 0xbf59a7d5, v86
	v_mul_f32_e32 v103, 0x3f2c7751, v129
	v_add_f32_e32 v59, v61, v59
	v_add_f32_e32 v87, v6, v44
	v_mov_b32_e32 v61, v103
	v_sub_f32_e32 v130, v47, v5
	;; [unrolled: 6-line block ×5, first 2 shown]
	v_fmac_f32_e32 v61, 0xbe8c1d8e, v90
	v_mul_f32_e32 v107, 0x3f7ee86f, v133
	v_add_f32_e32 v59, v61, v59
	v_add_f32_e32 v91, v50, v48
	v_mov_b32_e32 v61, v107
	v_fmac_f32_e32 v61, 0x3dbcf732, v91
	v_mul_f32_e32 v108, 0xbf59a7d5, v118
	v_add_f32_e32 v59, v61, v59
	v_mov_b32_e32 v61, v108
	v_mul_f32_e32 v109, 0x3ee437d1, v119
	v_fmac_f32_e32 v61, 0x3f06c442, v76
	v_mov_b32_e32 v62, v109
	v_add_f32_e32 v61, v33, v61
	v_fmac_f32_e32 v62, 0xbf65296c, v77
	v_mul_f32_e32 v110, 0x3dbcf732, v120
	v_add_f32_e32 v61, v62, v61
	v_mov_b32_e32 v62, v110
	v_fmac_f32_e32 v62, 0x3f7ee86f, v78
	v_mul_f32_e32 v111, 0xbf1a4643, v121
	v_add_f32_e32 v61, v62, v61
	v_mov_b32_e32 v62, v111
	v_fmac_f32_e32 v62, 0xbf4c4adb, v79
	v_mul_f32_e32 v112, 0x3f6eb680, v122
	v_add_f32_e32 v61, v62, v61
	v_mov_b32_e32 v62, v112
	v_fmac_f32_e32 v62, 0x3eb8f4ab, v80
	v_mul_f32_e32 v113, 0xbf7ba420, v123
	v_add_f32_e32 v61, v62, v61
	v_mov_b32_e32 v62, v113
	v_fmac_f32_e32 v62, 0x3e3c28d5, v81
	v_mul_f32_e32 v114, 0x3f3d2fb0, v124
	v_add_f32_e32 v61, v62, v61
	v_mov_b32_e32 v62, v114
	v_fmac_f32_e32 v62, 0xbf2c7751, v82
	v_mul_f32_e32 v115, 0xbe8c1d8e, v125
	v_add_f32_e32 v61, v62, v61
	v_mov_b32_e32 v62, v115
	v_fmac_f32_e32 v62, 0x3f763a35, v83
	v_mul_f32_e32 v134, 0xbf06c442, v126
	v_add_f32_e32 v62, v62, v61
	v_mov_b32_e32 v61, v134
	v_mul_f32_e32 v135, 0x3f65296c, v127
	v_fmac_f32_e32 v61, 0xbf59a7d5, v84
	v_mov_b32_e32 v63, v135
	v_add_f32_e32 v61, v32, v61
	v_fmac_f32_e32 v63, 0x3ee437d1, v85
	v_mul_f32_e32 v136, 0xbf7ee86f, v128
	v_add_f32_e32 v61, v63, v61
	v_mov_b32_e32 v63, v136
	v_fmac_f32_e32 v63, 0x3dbcf732, v86
	v_mul_f32_e32 v137, 0x3f4c4adb, v129
	v_add_f32_e32 v61, v63, v61
	v_mov_b32_e32 v63, v137
	v_fmac_f32_e32 v63, 0xbf1a4643, v87
	v_mul_f32_e32 v138, 0xbeb8f4ab, v130
	v_add_f32_e32 v61, v63, v61
	v_mov_b32_e32 v63, v138
	v_fmac_f32_e32 v63, 0x3f6eb680, v88
	v_mul_f32_e32 v139, 0xbe3c28d5, v131
	v_add_f32_e32 v61, v63, v61
	v_mov_b32_e32 v63, v139
	v_fmac_f32_e32 v63, 0xbf7ba420, v89
	v_mul_f32_e32 v140, 0x3f2c7751, v132
	v_add_f32_e32 v61, v63, v61
	v_mov_b32_e32 v63, v140
	v_fmac_f32_e32 v63, 0x3f3d2fb0, v90
	v_mul_f32_e32 v141, 0xbf763a35, v133
	;; [unrolled: 32-line block ×5, first 2 shown]
	v_add_f32_e32 v65, v66, v65
	v_mov_b32_e32 v66, v165
	v_fmac_f32_e32 v66, 0x3f4c4adb, v83
	v_mul_f32_e32 v166, 0xbf763a35, v126
	v_add_f32_e32 v66, v66, v65
	v_mov_b32_e32 v65, v166
	v_mul_f32_e32 v167, 0x3f06c442, v127
	v_add_f32_e32 v35, v35, v33
	v_fmac_f32_e32 v65, 0xbe8c1d8e, v84
	v_mov_b32_e32 v67, v167
	v_add_f32_e32 v35, v37, v35
	v_add_f32_e32 v65, v32, v65
	v_fmac_f32_e32 v67, 0xbf59a7d5, v85
	v_mul_f32_e32 v168, 0x3f2c7751, v128
	v_add_f32_e32 v35, v39, v35
	v_add_f32_e32 v65, v67, v65
	v_mov_b32_e32 v67, v168
	v_add_f32_e32 v35, v45, v35
	v_fmac_f32_e32 v67, 0x3f3d2fb0, v86
	v_mul_f32_e32 v169, 0xbf65296c, v129
	v_add_f32_e32 v35, v47, v35
	v_add_f32_e32 v65, v67, v65
	v_mov_b32_e32 v67, v169
	;; [unrolled: 6-line block ×6, first 2 shown]
	v_add_f32_e32 v1, v1, v5
	v_fmac_f32_e32 v67, 0xbf1a4643, v91
	v_mul_f32_e32 v174, 0x3dbcf732, v118
	v_add_f32_e32 v1, v3, v1
	v_add_f32_e32 v3, v34, v32
	;; [unrolled: 1-line block ×3, first 2 shown]
	v_mov_b32_e32 v67, v174
	v_mul_f32_e32 v175, 0xbf7ba420, v119
	v_add_f32_e32 v3, v36, v3
	v_fmac_f32_e32 v67, 0x3f7ee86f, v76
	v_mov_b32_e32 v68, v175
	v_add_f32_e32 v3, v38, v3
	v_add_f32_e32 v67, v33, v67
	v_fmac_f32_e32 v68, 0x3e3c28d5, v77
	v_mul_f32_e32 v176, 0xbe8c1d8e, v120
	v_add_f32_e32 v3, v44, v3
	v_add_f32_e32 v67, v68, v67
	v_mov_b32_e32 v68, v176
	v_add_f32_e32 v3, v46, v3
	v_fmac_f32_e32 v68, 0xbf763a35, v78
	v_mul_f32_e32 v177, 0x3f6eb680, v121
	v_add_f32_e32 v3, v52, v3
	v_add_f32_e32 v67, v68, v67
	v_mov_b32_e32 v68, v177
	;; [unrolled: 6-line block ×5, first 2 shown]
	v_add_f32_e32 v3, v6, v3
	v_fmac_f32_e32 v68, 0xbf4c4adb, v82
	v_mul_f32_e32 v181, 0x3f3d2fb0, v125
	v_add_f32_e32 v0, v0, v3
	v_fmac_f32_e32 v92, 0xbe3c28d5, v76
	v_add_f32_e32 v67, v68, v67
	v_mov_b32_e32 v68, v181
	v_add_f32_e32 v0, v2, v0
	v_add_f32_e32 v2, v33, v92
	v_fmac_f32_e32 v93, 0x3eb8f4ab, v77
	v_fmac_f32_e32 v68, 0xbf2c7751, v83
	v_mul_f32_e32 v182, 0xbf7ee86f, v126
	v_add_f32_e32 v2, v93, v2
	v_fmac_f32_e32 v94, 0xbf06c442, v78
	v_add_f32_e32 v68, v68, v67
	v_mov_b32_e32 v67, v182
	v_mul_f32_e32 v183, 0xbe3c28d5, v127
	v_add_f32_e32 v2, v94, v2
	v_fmac_f32_e32 v95, 0x3f2c7751, v79
	v_fmac_f32_e32 v67, 0x3dbcf732, v84
	v_mov_b32_e32 v69, v183
	v_add_f32_e32 v2, v95, v2
	v_fmac_f32_e32 v96, 0xbf4c4adb, v80
	v_add_f32_e32 v67, v32, v67
	v_fmac_f32_e32 v69, 0xbf7ba420, v85
	v_mul_f32_e32 v184, 0x3f763a35, v128
	v_add_f32_e32 v2, v96, v2
	v_fmac_f32_e32 v97, 0x3f65296c, v81
	v_add_f32_e32 v67, v69, v67
	v_mov_b32_e32 v69, v184
	v_add_f32_e32 v2, v97, v2
	v_fmac_f32_e32 v98, 0xbf763a35, v82
	s_mov_b32 s8, 0xbf7ba420
	v_fmac_f32_e32 v69, 0xbe8c1d8e, v86
	v_mul_f32_e32 v185, 0x3eb8f4ab, v129
	v_add_f32_e32 v2, v98, v2
	v_fmac_f32_e32 v99, 0x3f7ee86f, v83
	s_mov_b32 s10, 0x3f6eb680
	v_add_f32_e32 v67, v69, v67
	v_mov_b32_e32 v69, v185
	v_add_f32_e32 v3, v99, v2
	v_fma_f32 v2, v84, s8, -v100
	s_mov_b32 s9, 0xbf59a7d5
	v_fmac_f32_e32 v69, 0x3f6eb680, v87
	v_mul_f32_e32 v186, 0xbf65296c, v130
	v_add_f32_e32 v2, v32, v2
	v_fma_f32 v4, v85, s10, -v101
	s_mov_b32 s14, 0x3f3d2fb0
	v_add_f32_e32 v67, v69, v67
	v_mov_b32_e32 v69, v186
	v_add_f32_e32 v2, v4, v2
	v_fma_f32 v4, v86, s9, -v102
	s_mov_b32 s11, 0xbf1a4643
	v_fmac_f32_e32 v69, 0x3ee437d1, v88
	v_mul_f32_e32 v187, 0xbf06c442, v131
	v_add_f32_e32 v2, v4, v2
	v_fma_f32 v4, v87, s14, -v103
	s_mov_b32 s15, 0x3ee437d1
	v_add_f32_e32 v67, v69, v67
	v_mov_b32_e32 v69, v187
	v_add_f32_e32 v2, v4, v2
	v_fma_f32 v4, v88, s11, -v104
	v_fmac_f32_e32 v69, 0xbf59a7d5, v89
	v_mul_f32_e32 v188, 0x3f4c4adb, v132
	v_add_f32_e32 v2, v4, v2
	v_fma_f32 v4, v89, s15, -v105
	s_mov_b32 s17, 0x3dbcf732
	v_add_f32_e32 v67, v69, v67
	v_mov_b32_e32 v69, v188
	v_add_f32_e32 v2, v4, v2
	v_fma_f32 v4, v90, s16, -v106
	v_fmac_f32_e32 v69, 0xbf1a4643, v90
	v_mul_f32_e32 v189, 0x3f2c7751, v133
	v_add_f32_e32 v2, v4, v2
	v_fma_f32 v4, v91, s17, -v107
	v_fmac_f32_e32 v108, 0xbf06c442, v76
	v_add_f32_e32 v67, v69, v67
	v_mov_b32_e32 v69, v189
	v_add_f32_e32 v2, v4, v2
	v_add_f32_e32 v4, v33, v108
	v_fmac_f32_e32 v109, 0x3f65296c, v77
	v_fmac_f32_e32 v69, 0x3f3d2fb0, v91
	v_mul_f32_e32 v190, 0x3ee437d1, v118
	v_add_f32_e32 v4, v109, v4
	v_fmac_f32_e32 v110, 0xbf7ee86f, v78
	v_add_f32_e32 v67, v69, v67
	v_mov_b32_e32 v69, v190
	v_mul_f32_e32 v191, 0xbf1a4643, v119
	v_add_f32_e32 v4, v110, v4
	v_fmac_f32_e32 v111, 0x3f4c4adb, v79
	v_fmac_f32_e32 v69, 0x3f65296c, v76
	v_mov_b32_e32 v70, v191
	v_add_f32_e32 v4, v111, v4
	v_fmac_f32_e32 v112, 0xbeb8f4ab, v80
	v_add_f32_e32 v69, v33, v69
	v_fmac_f32_e32 v70, 0x3f4c4adb, v77
	v_mul_f32_e32 v192, 0xbf7ba420, v120
	v_add_f32_e32 v4, v112, v4
	v_fmac_f32_e32 v113, 0xbe3c28d5, v81
	v_add_f32_e32 v69, v70, v69
	v_mov_b32_e32 v70, v192
	v_add_f32_e32 v4, v113, v4
	v_fmac_f32_e32 v114, 0x3f2c7751, v82
	v_fmac_f32_e32 v70, 0xbe3c28d5, v78
	v_mul_f32_e32 v193, 0xbe8c1d8e, v121
	v_add_f32_e32 v4, v114, v4
	v_fmac_f32_e32 v115, 0xbf763a35, v83
	v_add_f32_e32 v69, v70, v69
	v_mov_b32_e32 v70, v193
	v_add_f32_e32 v5, v115, v4
	v_fma_f32 v4, v84, s9, -v134
	v_fmac_f32_e32 v70, 0xbf763a35, v79
	v_mul_f32_e32 v194, 0x3f3d2fb0, v122
	v_add_f32_e32 v4, v32, v4
	v_fma_f32 v6, v85, s15, -v135
	v_add_f32_e32 v69, v70, v69
	v_mov_b32_e32 v70, v194
	v_add_f32_e32 v4, v6, v4
	v_fma_f32 v6, v86, s17, -v136
	v_fmac_f32_e32 v70, 0xbf2c7751, v80
	v_mul_f32_e32 v195, 0x3f6eb680, v123
	v_add_f32_e32 v4, v6, v4
	v_fma_f32 v6, v87, s11, -v137
	v_add_f32_e32 v69, v70, v69
	v_mov_b32_e32 v70, v195
	v_add_f32_e32 v4, v6, v4
	v_fma_f32 v6, v88, s10, -v138
	v_fmac_f32_e32 v70, 0x3eb8f4ab, v81
	v_mul_f32_e32 v196, 0x3dbcf732, v124
	v_add_f32_e32 v4, v6, v4
	v_fma_f32 v6, v89, s8, -v139
	v_add_f32_e32 v69, v70, v69
	v_mov_b32_e32 v70, v196
	v_add_f32_e32 v4, v6, v4
	v_fma_f32 v6, v90, s14, -v140
	v_fmac_f32_e32 v70, 0x3f7ee86f, v82
	v_mul_f32_e32 v197, 0xbf59a7d5, v125
	v_add_f32_e32 v4, v6, v4
	v_fma_f32 v6, v91, s16, -v141
	v_fmac_f32_e32 v142, 0xbf4c4adb, v76
	v_add_f32_e32 v69, v70, v69
	v_mov_b32_e32 v70, v197
	v_add_f32_e32 v4, v6, v4
	v_add_f32_e32 v6, v33, v142
	v_fmac_f32_e32 v143, 0x3f763a35, v77
	v_fmac_f32_e32 v70, 0x3f06c442, v83
	v_mul_f32_e32 v198, 0xbf65296c, v126
	v_add_f32_e32 v6, v143, v6
	v_fmac_f32_e32 v144, 0xbeb8f4ab, v78
	v_add_f32_e32 v70, v70, v69
	v_mov_b32_e32 v69, v198
	v_mul_f32_e32 v199, 0xbf4c4adb, v127
	v_add_f32_e32 v6, v144, v6
	v_fmac_f32_e32 v145, 0xbf06c442, v79
	v_fmac_f32_e32 v69, 0x3ee437d1, v84
	v_mov_b32_e32 v116, v199
	v_add_f32_e32 v6, v145, v6
	v_fmac_f32_e32 v146, 0x3f7ee86f, v80
	v_add_f32_e32 v69, v32, v69
	v_fmac_f32_e32 v116, 0xbf1a4643, v85
	v_mul_f32_e32 v200, 0x3e3c28d5, v128
	v_add_f32_e32 v6, v146, v6
	v_fmac_f32_e32 v147, 0xbf2c7751, v81
	v_add_f32_e32 v69, v116, v69
	v_mov_b32_e32 v116, v200
	v_add_f32_e32 v6, v147, v6
	v_fmac_f32_e32 v148, 0xbe3c28d5, v82
	v_fmac_f32_e32 v116, 0xbf7ba420, v86
	v_mul_f32_e32 v201, 0x3f763a35, v129
	v_add_f32_e32 v6, v148, v6
	v_fmac_f32_e32 v149, 0x3f65296c, v83
	v_add_f32_e32 v69, v116, v69
	v_mov_b32_e32 v116, v201
	v_add_f32_e32 v7, v149, v6
	v_fma_f32 v6, v84, s11, -v150
	v_fmac_f32_e32 v116, 0xbe8c1d8e, v87
	v_mul_f32_e32 v202, 0x3f2c7751, v130
	v_add_f32_e32 v6, v32, v6
	v_fma_f32 v34, v85, s16, -v151
	v_add_f32_e32 v69, v116, v69
	v_mov_b32_e32 v116, v202
	v_add_f32_e32 v6, v34, v6
	v_fma_f32 v34, v86, s10, -v152
	v_fmac_f32_e32 v116, 0x3f3d2fb0, v88
	v_mul_f32_e32 v203, 0xbeb8f4ab, v131
	v_add_f32_e32 v6, v34, v6
	v_fma_f32 v34, v87, s9, -v153
	v_add_f32_e32 v69, v116, v69
	v_mov_b32_e32 v116, v203
	v_add_f32_e32 v6, v34, v6
	v_fma_f32 v34, v88, s17, -v154
	v_fmac_f32_e32 v116, 0x3f6eb680, v89
	v_mul_f32_e32 v204, 0xbf7ee86f, v132
	v_add_f32_e32 v6, v34, v6
	v_fma_f32 v34, v89, s14, -v155
	;; [unrolled: 64-line block ×3, first 2 shown]
	v_add_f32_e32 v116, v117, v116
	v_mov_b32_e32 v117, v212
	v_add_f32_e32 v34, v36, v34
	v_fma_f32 v36, v90, s10, -v172
	v_fmac_f32_e32 v117, 0xbf65296c, v82
	v_mul_f32_e32 v213, 0x3f6eb680, v125
	v_add_f32_e32 v34, v36, v34
	v_fma_f32 v36, v91, s11, -v173
	v_fmac_f32_e32 v174, 0xbf7ee86f, v76
	v_add_f32_e32 v116, v117, v116
	v_mov_b32_e32 v117, v213
	v_add_f32_e32 v34, v36, v34
	v_add_f32_e32 v36, v33, v174
	v_fmac_f32_e32 v175, 0xbe3c28d5, v77
	v_fmac_f32_e32 v117, 0xbeb8f4ab, v83
	v_mul_f32_e32 v214, 0xbf2c7751, v126
	v_add_f32_e32 v36, v175, v36
	v_fmac_f32_e32 v176, 0x3f763a35, v78
	v_add_f32_e32 v117, v117, v116
	v_mov_b32_e32 v116, v214
	v_mul_f32_e32 v215, 0xbf7ee86f, v127
	v_add_f32_e32 v36, v176, v36
	v_fmac_f32_e32 v177, 0x3eb8f4ab, v79
	v_fmac_f32_e32 v116, 0x3f3d2fb0, v84
	v_mov_b32_e32 v216, v215
	v_add_f32_e32 v36, v177, v36
	v_fmac_f32_e32 v178, 0xbf65296c, v80
	v_add_f32_e32 v116, v32, v116
	v_fmac_f32_e32 v216, 0x3dbcf732, v85
	;; [unrolled: 2-line block ×3, first 2 shown]
	v_add_f32_e32 v116, v216, v116
	v_mul_f32_e32 v216, 0xbf4c4adb, v128
	v_add_f32_e32 v36, v179, v36
	v_fmac_f32_e32 v180, 0x3f4c4adb, v82
	v_mov_b32_e32 v217, v216
	v_add_f32_e32 v36, v180, v36
	v_fmac_f32_e32 v181, 0x3f2c7751, v83
	v_fmac_f32_e32 v217, 0xbf1a4643, v86
	v_add_f32_e32 v37, v181, v36
	v_fma_f32 v36, v84, s17, -v182
	v_add_f32_e32 v116, v217, v116
	v_mul_f32_e32 v217, 0xbe3c28d5, v129
	v_add_f32_e32 v36, v32, v36
	v_fma_f32 v38, v85, s8, -v183
	v_mov_b32_e32 v218, v217
	v_add_f32_e32 v36, v38, v36
	v_fma_f32 v38, v86, s16, -v184
	v_fmac_f32_e32 v218, 0xbf7ba420, v87
	v_add_f32_e32 v36, v38, v36
	v_fma_f32 v38, v87, s10, -v185
	v_add_f32_e32 v116, v218, v116
	v_mul_f32_e32 v218, 0x3f06c442, v130
	v_add_f32_e32 v36, v38, v36
	v_fma_f32 v38, v88, s15, -v186
	v_mov_b32_e32 v219, v218
	v_add_f32_e32 v36, v38, v36
	v_fma_f32 v38, v89, s9, -v187
	v_fmac_f32_e32 v219, 0xbf59a7d5, v88
	v_add_f32_e32 v36, v38, v36
	v_fma_f32 v38, v90, s11, -v188
	v_add_f32_e32 v116, v219, v116
	v_mul_f32_e32 v219, 0x3f763a35, v131
	v_add_f32_e32 v36, v38, v36
	v_fma_f32 v38, v91, s14, -v189
	v_fmac_f32_e32 v190, 0xbf65296c, v76
	v_mov_b32_e32 v220, v219
	v_add_f32_e32 v36, v38, v36
	v_add_f32_e32 v38, v33, v190
	v_fmac_f32_e32 v191, 0xbf4c4adb, v77
	v_fmac_f32_e32 v220, 0xbe8c1d8e, v89
	v_add_f32_e32 v38, v191, v38
	v_fmac_f32_e32 v192, 0x3e3c28d5, v78
	v_add_f32_e32 v116, v220, v116
	v_mul_f32_e32 v220, 0x3f65296c, v132
	v_add_f32_e32 v38, v192, v38
	v_fmac_f32_e32 v193, 0x3f763a35, v79
	v_mov_b32_e32 v221, v220
	v_add_f32_e32 v38, v193, v38
	v_fmac_f32_e32 v194, 0x3f2c7751, v80
	v_fmac_f32_e32 v221, 0x3ee437d1, v90
	v_add_f32_e32 v38, v194, v38
	v_fmac_f32_e32 v195, 0xbeb8f4ab, v81
	v_add_f32_e32 v116, v221, v116
	v_mul_f32_e32 v221, 0x3eb8f4ab, v133
	v_add_f32_e32 v38, v195, v38
	v_fmac_f32_e32 v196, 0xbf7ee86f, v82
	v_mov_b32_e32 v222, v221
	v_add_f32_e32 v38, v196, v38
	v_fmac_f32_e32 v197, 0xbf06c442, v83
	v_fmac_f32_e32 v222, 0x3f6eb680, v91
	v_add_f32_e32 v39, v197, v38
	v_fma_f32 v38, v84, s15, -v198
	v_add_f32_e32 v116, v222, v116
	v_mul_f32_e32 v222, 0x3f6eb680, v118
	v_add_f32_e32 v38, v32, v38
	v_fma_f32 v40, v85, s11, -v199
	v_mov_b32_e32 v118, v222
	v_mul_f32_e32 v223, 0x3f3d2fb0, v119
	v_add_f32_e32 v38, v40, v38
	v_fma_f32 v40, v86, s8, -v200
	v_fmac_f32_e32 v118, 0x3eb8f4ab, v76
	v_mov_b32_e32 v119, v223
	v_add_f32_e32 v38, v40, v38
	v_fma_f32 v40, v87, s16, -v201
	v_add_f32_e32 v118, v33, v118
	v_fmac_f32_e32 v119, 0x3f2c7751, v77
	v_mul_f32_e32 v120, 0x3ee437d1, v120
	v_add_f32_e32 v38, v40, v38
	v_fma_f32 v40, v88, s14, -v202
	v_add_f32_e32 v118, v119, v118
	v_mov_b32_e32 v119, v120
	v_add_f32_e32 v38, v40, v38
	v_fma_f32 v40, v89, s10, -v203
	v_fmac_f32_e32 v119, 0x3f65296c, v78
	v_mul_f32_e32 v121, 0x3dbcf732, v121
	v_add_f32_e32 v38, v40, v38
	v_fma_f32 v40, v90, s17, -v204
	v_add_f32_e32 v118, v119, v118
	v_mov_b32_e32 v119, v121
	v_add_f32_e32 v38, v40, v38
	v_fma_f32 v40, v91, s9, -v205
	v_fmac_f32_e32 v206, 0xbf2c7751, v76
	v_fmac_f32_e32 v119, 0x3f7ee86f, v79
	v_mul_f32_e32 v122, 0xbe8c1d8e, v122
	v_add_f32_e32 v38, v40, v38
	v_add_f32_e32 v40, v33, v206
	v_fmac_f32_e32 v207, 0xbf7ee86f, v77
	v_add_f32_e32 v118, v119, v118
	v_mov_b32_e32 v119, v122
	v_add_f32_e32 v40, v207, v40
	v_fmac_f32_e32 v208, 0xbf4c4adb, v78
	v_fmac_f32_e32 v119, 0x3f763a35, v80
	v_mul_f32_e32 v123, 0xbf1a4643, v123
	v_add_f32_e32 v40, v208, v40
	v_fmac_f32_e32 v209, 0xbe3c28d5, v79
	v_add_f32_e32 v118, v119, v118
	v_mov_b32_e32 v119, v123
	v_add_f32_e32 v40, v209, v40
	v_fmac_f32_e32 v210, 0x3f06c442, v80
	v_fmac_f32_e32 v119, 0x3f4c4adb, v81
	v_mul_f32_e32 v124, 0xbf59a7d5, v124
	;; [unrolled: 8-line block ×3, first 2 shown]
	v_add_f32_e32 v40, v212, v40
	v_fmac_f32_e32 v213, 0x3eb8f4ab, v83
	v_add_f32_e32 v118, v119, v118
	v_mov_b32_e32 v119, v125
	v_add_f32_e32 v41, v213, v40
	v_fma_f32 v40, v84, s14, -v214
	v_fmac_f32_e32 v119, 0x3e3c28d5, v83
	v_mul_f32_e32 v126, 0xbeb8f4ab, v126
	v_add_f32_e32 v40, v32, v40
	v_fma_f32 v42, v85, s17, -v215
	v_add_f32_e32 v119, v119, v118
	v_mov_b32_e32 v118, v126
	v_mul_f32_e32 v127, 0xbf2c7751, v127
	v_add_f32_e32 v40, v42, v40
	v_fma_f32 v42, v86, s11, -v216
	v_fmac_f32_e32 v118, 0x3f6eb680, v84
	v_mov_b32_e32 v224, v127
	v_add_f32_e32 v40, v42, v40
	v_fma_f32 v42, v87, s8, -v217
	v_add_f32_e32 v118, v32, v118
	v_fmac_f32_e32 v224, 0x3f3d2fb0, v85
	v_mul_f32_e32 v128, 0xbf65296c, v128
	v_add_f32_e32 v40, v42, v40
	v_fma_f32 v42, v88, s9, -v218
	v_add_f32_e32 v118, v224, v118
	v_mov_b32_e32 v224, v128
	v_add_f32_e32 v40, v42, v40
	v_fma_f32 v42, v89, s16, -v219
	v_fmac_f32_e32 v224, 0x3ee437d1, v86
	v_mul_f32_e32 v129, 0xbf7ee86f, v129
	v_add_f32_e32 v40, v42, v40
	v_fma_f32 v42, v90, s15, -v220
	v_add_f32_e32 v118, v224, v118
	v_mov_b32_e32 v224, v129
	v_add_f32_e32 v40, v42, v40
	v_fma_f32 v42, v91, s10, -v221
	;; [unrolled: 8-line block ×3, first 2 shown]
	v_fmac_f32_e32 v224, 0xbe8c1d8e, v88
	v_mul_f32_e32 v131, 0xbf4c4adb, v131
	v_fmac_f32_e32 v222, 0xbeb8f4ab, v76
	v_add_f32_e32 v32, v42, v32
	v_fma_f32 v42, v86, s15, -v128
	v_add_f32_e32 v118, v224, v118
	v_mov_b32_e32 v224, v131
	v_add_f32_e32 v33, v33, v222
	v_fmac_f32_e32 v223, 0xbf2c7751, v77
	v_add_f32_e32 v32, v42, v32
	v_fma_f32 v42, v87, s17, -v129
	v_fmac_f32_e32 v224, 0xbf1a4643, v89
	v_mul_f32_e32 v132, 0xbf06c442, v132
	v_add_f32_e32 v33, v223, v33
	v_fmac_f32_e32 v120, 0xbf65296c, v78
	v_add_f32_e32 v32, v42, v32
	v_fma_f32 v42, v88, s16, -v130
	v_add_f32_e32 v118, v224, v118
	v_mov_b32_e32 v224, v132
	v_add_f32_e32 v33, v120, v33
	v_fmac_f32_e32 v121, 0xbf7ee86f, v79
	v_add_f32_e32 v32, v42, v32
	v_fma_f32 v42, v89, s11, -v131
	v_fmac_f32_e32 v224, 0xbf59a7d5, v90
	v_mul_f32_e32 v133, 0xbe3c28d5, v133
	v_add_f32_e32 v33, v121, v33
	v_fmac_f32_e32 v122, 0xbf763a35, v80
	v_add_f32_e32 v32, v42, v32
	v_fma_f32 v42, v90, s9, -v132
	v_add_f32_e32 v118, v224, v118
	v_mov_b32_e32 v224, v133
	v_add_f32_e32 v33, v122, v33
	v_fmac_f32_e32 v123, 0xbf4c4adb, v81
	v_add_f32_e32 v32, v42, v32
	v_fma_f32 v42, v91, s8, -v133
	v_fmac_f32_e32 v224, 0xbf7ba420, v91
	v_add_f32_e32 v33, v123, v33
	v_fmac_f32_e32 v124, 0xbf06c442, v82
	v_add_f32_e32 v32, v42, v32
	v_mul_lo_u16_e32 v42, 17, v71
	v_add_f32_e32 v118, v224, v118
	v_add_f32_e32 v1, v58, v1
	;; [unrolled: 1-line block ×4, first 2 shown]
	v_fmac_f32_e32 v125, 0xbe3c28d5, v83
	v_lshl_add_u32 v42, v42, 3, v73
	v_add_f32_e32 v33, v125, v33
	ds_write2_b64 v42, v[0:1], v[118:119] offset1:1
	ds_write2_b64 v42, v[116:117], v[69:70] offset0:2 offset1:3
	ds_write2_b64 v42, v[67:68], v[65:66] offset0:4 offset1:5
	ds_write2_b64 v42, v[63:64], v[61:62] offset0:6 offset1:7
	ds_write2_b64 v42, v[59:60], v[2:3] offset0:8 offset1:9
	ds_write2_b64 v42, v[4:5], v[6:7] offset0:10 offset1:11
	ds_write2_b64 v42, v[34:35], v[36:37] offset0:12 offset1:13
	ds_write2_b64 v42, v[38:39], v[40:41] offset0:14 offset1:15
	ds_write_b64 v42, v[32:33] offset:128
.LBB0_13:
	s_or_b64 exec, exec, s[4:5]
	s_waitcnt lgkmcnt(0)
	s_barrier
	ds_read2_b64 v[0:3], v75 offset1:17
	ds_read2_b64 v[4:7], v75 offset0:34 offset1:51
	ds_read2_b64 v[32:35], v75 offset0:68 offset1:85
	;; [unrolled: 1-line block ×5, first 2 shown]
	ds_read_b64 v[48:49], v75 offset:1632
	s_waitcnt lgkmcnt(6)
	v_mul_f32_e32 v50, v25, v3
	v_fmac_f32_e32 v50, v24, v2
	v_mul_f32_e32 v2, v25, v2
	v_fma_f32 v24, v24, v3, -v2
	s_waitcnt lgkmcnt(5)
	v_mul_f32_e32 v25, v27, v5
	v_mul_f32_e32 v2, v27, v4
	v_fmac_f32_e32 v25, v26, v4
	v_fma_f32 v4, v26, v5, -v2
	v_mul_f32_e32 v5, v17, v7
	v_mul_f32_e32 v2, v17, v6
	v_fmac_f32_e32 v5, v16, v6
	v_fma_f32 v6, v16, v7, -v2
	s_waitcnt lgkmcnt(4)
	v_mul_f32_e32 v2, v19, v32
	v_fma_f32 v16, v18, v33, -v2
	v_mul_f32_e32 v17, v13, v35
	v_mul_f32_e32 v2, v13, v34
	v_fmac_f32_e32 v17, v12, v34
	v_fma_f32 v12, v12, v35, -v2
	s_waitcnt lgkmcnt(3)
	v_mul_f32_e32 v13, v15, v37
	v_mul_f32_e32 v2, v15, v36
	v_fmac_f32_e32 v13, v14, v36
	v_fma_f32 v14, v14, v37, -v2
	v_mul_f32_e32 v15, v9, v39
	v_mul_f32_e32 v2, v9, v38
	v_fmac_f32_e32 v15, v8, v38
	v_fma_f32 v8, v8, v39, -v2
	s_waitcnt lgkmcnt(2)
	v_mul_f32_e32 v9, v11, v41
	v_mul_f32_e32 v2, v11, v40
	;; [unrolled: 1-line block ×3, first 2 shown]
	v_fmac_f32_e32 v9, v10, v40
	v_fma_f32 v10, v10, v41, -v2
	v_mul_f32_e32 v2, v29, v42
	v_add_f32_e32 v3, v1, v24
	v_fmac_f32_e32 v7, v18, v32
	v_fma_f32 v18, v28, v43, -v2
	s_waitcnt lgkmcnt(1)
	v_mul_f32_e32 v2, v31, v44
	v_add_f32_e32 v3, v3, v4
	v_fma_f32 v26, v30, v45, -v2
	v_mul_f32_e32 v27, v21, v47
	v_mul_f32_e32 v2, v21, v46
	v_add_f32_e32 v3, v3, v6
	v_fmac_f32_e32 v27, v20, v46
	v_fma_f32 v20, v20, v47, -v2
	s_waitcnt lgkmcnt(0)
	v_mul_f32_e32 v21, v23, v49
	v_mul_f32_e32 v2, v23, v48
	v_add_f32_e32 v3, v3, v16
	v_fmac_f32_e32 v21, v22, v48
	v_fma_f32 v22, v22, v49, -v2
	v_add_f32_e32 v2, v0, v50
	v_add_f32_e32 v3, v3, v12
	;; [unrolled: 1-line block ×12, first 2 shown]
	v_mul_f32_e32 v11, v29, v43
	v_add_f32_e32 v2, v2, v15
	v_add_f32_e32 v3, v3, v20
	v_fmac_f32_e32 v11, v28, v42
	v_mul_f32_e32 v19, v31, v45
	v_add_f32_e32 v2, v2, v9
	v_add_f32_e32 v3, v3, v22
	;; [unrolled: 1-line block ×3, first 2 shown]
	v_sub_f32_e32 v22, v24, v22
	v_fmac_f32_e32 v19, v30, v44
	v_add_f32_e32 v2, v2, v11
	v_mul_f32_e32 v24, 0xbeedf032, v22
	v_mul_f32_e32 v32, 0xbf52af12, v22
	;; [unrolled: 1-line block ×6, first 2 shown]
	v_add_f32_e32 v2, v2, v19
	v_add_f32_e32 v23, v50, v21
	s_mov_b32 s8, 0x3f62ad3f
	v_mov_b32_e32 v29, v24
	s_mov_b32 s5, 0x3f116cb1
	v_mov_b32_e32 v33, v32
	;; [unrolled: 2-line block ×6, first 2 shown]
	v_add_f32_e32 v2, v2, v27
	v_fmac_f32_e32 v29, 0x3f62ad3f, v23
	v_mul_f32_e32 v30, 0x3f62ad3f, v28
	v_fma_f32 v24, v23, s8, -v24
	v_fmac_f32_e32 v33, 0x3f116cb1, v23
	v_mul_f32_e32 v34, 0x3f116cb1, v28
	v_fma_f32 v32, v23, s5, -v32
	;; [unrolled: 3-line block ×6, first 2 shown]
	v_add_f32_e32 v2, v2, v21
	v_sub_f32_e32 v21, v50, v21
	v_add_f32_e32 v29, v0, v29
	v_mov_b32_e32 v31, v30
	v_add_f32_e32 v24, v0, v24
	v_add_f32_e32 v33, v0, v33
	v_mov_b32_e32 v35, v34
	v_add_f32_e32 v32, v0, v32
	;; [unrolled: 3-line block ×6, first 2 shown]
	v_add_f32_e32 v22, v4, v20
	v_sub_f32_e32 v4, v4, v20
	v_fmac_f32_e32 v31, 0x3eedf032, v21
	v_fmac_f32_e32 v30, 0xbeedf032, v21
	;; [unrolled: 1-line block ×12, first 2 shown]
	v_add_f32_e32 v21, v25, v27
	v_sub_f32_e32 v23, v25, v27
	v_mul_f32_e32 v20, 0xbf52af12, v4
	v_mul_f32_e32 v27, 0x3f116cb1, v22
	v_add_f32_e32 v31, v1, v31
	v_add_f32_e32 v30, v1, v30
	;; [unrolled: 1-line block ×12, first 2 shown]
	v_mov_b32_e32 v25, v20
	v_mov_b32_e32 v28, v27
	v_fma_f32 v20, v21, s5, -v20
	v_fmac_f32_e32 v27, 0xbf52af12, v23
	v_fmac_f32_e32 v25, 0x3f116cb1, v21
	v_add_f32_e32 v20, v20, v24
	v_add_f32_e32 v24, v27, v30
	v_mul_f32_e32 v27, 0xbf6f5d39, v4
	v_add_f32_e32 v25, v25, v29
	v_mov_b32_e32 v29, v27
	v_fma_f32 v27, v21, s9, -v27
	v_fmac_f32_e32 v29, 0xbeb58ec6, v21
	v_add_f32_e32 v27, v27, v32
	v_mul_f32_e32 v32, 0xbe750f2a, v4
	v_fmac_f32_e32 v28, 0x3f52af12, v23
	v_add_f32_e32 v29, v29, v33
	v_mul_f32_e32 v30, 0xbeb58ec6, v22
	v_mov_b32_e32 v33, v32
	v_fma_f32 v32, v21, s11, -v32
	v_add_f32_e32 v28, v28, v31
	v_mov_b32_e32 v31, v30
	v_fmac_f32_e32 v30, 0xbf6f5d39, v23
	v_fmac_f32_e32 v33, 0xbf788fa5, v21
	v_add_f32_e32 v32, v32, v36
	v_mul_f32_e32 v36, 0x3f29c268, v4
	v_fmac_f32_e32 v31, 0x3f6f5d39, v23
	v_add_f32_e32 v30, v30, v34
	v_add_f32_e32 v33, v33, v37
	v_mul_f32_e32 v34, 0xbf788fa5, v22
	v_mov_b32_e32 v37, v36
	v_fma_f32 v36, v21, s10, -v36
	v_add_f32_e32 v31, v31, v35
	v_mov_b32_e32 v35, v34
	v_fmac_f32_e32 v34, 0xbe750f2a, v23
	v_fmac_f32_e32 v37, 0xbf3f9e67, v21
	v_add_f32_e32 v36, v36, v40
	v_mul_f32_e32 v40, 0x3f7e222b, v4
	v_fmac_f32_e32 v35, 0x3e750f2a, v23
	v_add_f32_e32 v34, v34, v38
	v_add_f32_e32 v37, v37, v41
	v_mul_f32_e32 v38, 0xbf3f9e67, v22
	v_mov_b32_e32 v41, v40
	v_fma_f32 v40, v21, s4, -v40
	v_mul_f32_e32 v4, 0x3eedf032, v4
	v_add_f32_e32 v35, v35, v39
	v_mov_b32_e32 v39, v38
	v_fmac_f32_e32 v38, 0x3f29c268, v23
	v_add_f32_e32 v40, v40, v44
	v_mov_b32_e32 v44, v4
	v_add_f32_e32 v38, v38, v42
	v_fmac_f32_e32 v41, 0x3df6dbef, v21
	v_mul_f32_e32 v42, 0x3df6dbef, v22
	v_fmac_f32_e32 v44, 0x3f62ad3f, v21
	v_mul_f32_e32 v22, 0x3f62ad3f, v22
	v_fma_f32 v4, v21, s8, -v4
	v_add_f32_e32 v21, v6, v26
	v_sub_f32_e32 v6, v6, v26
	v_fmac_f32_e32 v39, 0xbf29c268, v23
	v_add_f32_e32 v41, v41, v45
	v_mov_b32_e32 v45, v22
	v_add_f32_e32 v0, v4, v0
	v_fmac_f32_e32 v22, 0x3eedf032, v23
	v_add_f32_e32 v4, v5, v19
	v_sub_f32_e32 v5, v5, v19
	v_mul_f32_e32 v19, 0xbf7e222b, v6
	v_add_f32_e32 v39, v39, v43
	v_mov_b32_e32 v43, v42
	v_add_f32_e32 v1, v22, v1
	v_mov_b32_e32 v22, v19
	v_fmac_f32_e32 v43, 0xbf7e222b, v23
	v_fmac_f32_e32 v42, 0x3f7e222b, v23
	;; [unrolled: 1-line block ×4, first 2 shown]
	v_mul_f32_e32 v23, 0x3df6dbef, v21
	v_add_f32_e32 v22, v22, v25
	v_mov_b32_e32 v25, v23
	v_fma_f32 v19, v4, s4, -v19
	v_fmac_f32_e32 v23, 0xbf7e222b, v5
	v_add_f32_e32 v19, v19, v20
	v_add_f32_e32 v20, v23, v24
	v_mul_f32_e32 v23, 0xbe750f2a, v6
	v_mov_b32_e32 v24, v23
	v_fma_f32 v23, v4, s11, -v23
	v_fmac_f32_e32 v24, 0xbf788fa5, v4
	v_add_f32_e32 v23, v23, v27
	v_mul_f32_e32 v27, 0x3f6f5d39, v6
	v_fmac_f32_e32 v25, 0x3f7e222b, v5
	v_add_f32_e32 v24, v24, v29
	v_mul_f32_e32 v26, 0xbf788fa5, v21
	v_mov_b32_e32 v29, v27
	v_fma_f32 v27, v4, s9, -v27
	v_add_f32_e32 v25, v25, v28
	v_mov_b32_e32 v28, v26
	v_fmac_f32_e32 v26, 0xbe750f2a, v5
	v_fmac_f32_e32 v29, 0xbeb58ec6, v4
	v_add_f32_e32 v27, v27, v32
	v_mul_f32_e32 v32, 0x3eedf032, v6
	v_fmac_f32_e32 v28, 0x3e750f2a, v5
	v_add_f32_e32 v26, v26, v30
	v_add_f32_e32 v29, v29, v33
	v_mul_f32_e32 v30, 0xbeb58ec6, v21
	v_mov_b32_e32 v33, v32
	v_fma_f32 v32, v4, s8, -v32
	v_add_f32_e32 v28, v28, v31
	v_mov_b32_e32 v31, v30
	v_fmac_f32_e32 v30, 0x3f6f5d39, v5
	v_fmac_f32_e32 v33, 0x3f62ad3f, v4
	v_add_f32_e32 v32, v32, v36
	v_mul_f32_e32 v36, 0xbf52af12, v6
	v_fmac_f32_e32 v31, 0xbf6f5d39, v5
	v_add_f32_e32 v30, v30, v34
	v_add_f32_e32 v33, v33, v37
	v_mul_f32_e32 v34, 0x3f62ad3f, v21
	v_mov_b32_e32 v37, v36
	v_fma_f32 v36, v4, s5, -v36
	v_mul_f32_e32 v6, 0xbf29c268, v6
	v_add_f32_e32 v31, v31, v35
	v_mov_b32_e32 v35, v34
	v_fmac_f32_e32 v34, 0x3eedf032, v5
	v_add_f32_e32 v36, v36, v40
	v_mov_b32_e32 v40, v6
	v_fmac_f32_e32 v35, 0xbeedf032, v5
	v_add_f32_e32 v34, v34, v38
	v_fmac_f32_e32 v37, 0x3f116cb1, v4
	v_mul_f32_e32 v38, 0x3f116cb1, v21
	v_fmac_f32_e32 v40, 0xbf3f9e67, v4
	v_mul_f32_e32 v21, 0xbf3f9e67, v21
	v_fma_f32 v4, v4, s10, -v6
	v_add_f32_e32 v35, v35, v39
	v_add_f32_e32 v37, v37, v41
	v_mov_b32_e32 v39, v38
	v_mov_b32_e32 v41, v21
	v_add_f32_e32 v0, v4, v0
	v_add_f32_e32 v4, v7, v11
	v_sub_f32_e32 v6, v7, v11
	v_sub_f32_e32 v7, v16, v18
	v_fmac_f32_e32 v39, 0x3f52af12, v5
	v_fmac_f32_e32 v38, 0xbf52af12, v5
	;; [unrolled: 1-line block ×4, first 2 shown]
	v_add_f32_e32 v5, v16, v18
	v_mul_f32_e32 v11, 0xbf6f5d39, v7
	v_mov_b32_e32 v16, v11
	v_mul_f32_e32 v18, 0xbeb58ec6, v5
	v_fma_f32 v11, v4, s9, -v11
	v_add_f32_e32 v1, v21, v1
	v_mov_b32_e32 v21, v18
	v_add_f32_e32 v11, v11, v19
	v_fmac_f32_e32 v18, 0xbf6f5d39, v6
	v_mul_f32_e32 v19, 0x3f29c268, v7
	v_fmac_f32_e32 v16, 0xbeb58ec6, v4
	v_add_f32_e32 v18, v18, v20
	v_mov_b32_e32 v20, v19
	v_fma_f32 v19, v4, s10, -v19
	v_add_f32_e32 v16, v16, v22
	v_fmac_f32_e32 v21, 0x3f6f5d39, v6
	v_fmac_f32_e32 v20, 0xbf3f9e67, v4
	v_mul_f32_e32 v22, 0xbf3f9e67, v5
	v_add_f32_e32 v19, v19, v23
	v_mul_f32_e32 v23, 0x3eedf032, v7
	v_add_f32_e32 v21, v21, v25
	v_add_f32_e32 v20, v20, v24
	v_mov_b32_e32 v24, v22
	v_fmac_f32_e32 v22, 0x3f29c268, v6
	v_mov_b32_e32 v25, v23
	v_fma_f32 v23, v4, s8, -v23
	v_fmac_f32_e32 v24, 0xbf29c268, v6
	v_add_f32_e32 v22, v22, v26
	v_fmac_f32_e32 v25, 0x3f62ad3f, v4
	v_mul_f32_e32 v26, 0x3f62ad3f, v5
	v_add_f32_e32 v23, v23, v27
	v_mul_f32_e32 v27, 0xbf7e222b, v7
	v_add_f32_e32 v24, v24, v28
	v_add_f32_e32 v25, v25, v29
	v_mov_b32_e32 v28, v26
	v_fmac_f32_e32 v26, 0x3eedf032, v6
	v_mov_b32_e32 v29, v27
	v_fma_f32 v27, v4, s4, -v27
	v_fmac_f32_e32 v28, 0xbeedf032, v6
	v_add_f32_e32 v26, v26, v30
	v_fmac_f32_e32 v29, 0x3df6dbef, v4
	v_mul_f32_e32 v30, 0x3df6dbef, v5
	v_add_f32_e32 v27, v27, v32
	v_mul_f32_e32 v32, 0x3e750f2a, v7
	v_add_f32_e32 v28, v28, v31
	v_add_f32_e32 v29, v29, v33
	v_mov_b32_e32 v31, v30
	v_fmac_f32_e32 v30, 0xbf7e222b, v6
	v_mov_b32_e32 v33, v32
	v_fma_f32 v32, v4, s11, -v32
	v_mul_f32_e32 v7, 0x3f52af12, v7
	v_fmac_f32_e32 v31, 0x3f7e222b, v6
	v_add_f32_e32 v30, v30, v34
	v_fmac_f32_e32 v33, 0xbf788fa5, v4
	v_mul_f32_e32 v34, 0xbf788fa5, v5
	v_add_f32_e32 v32, v32, v36
	v_mov_b32_e32 v36, v7
	v_mul_f32_e32 v5, 0x3f116cb1, v5
	v_add_f32_e32 v31, v31, v35
	v_add_f32_e32 v33, v33, v37
	v_mov_b32_e32 v35, v34
	v_fmac_f32_e32 v36, 0x3f116cb1, v4
	v_mov_b32_e32 v37, v5
	v_fma_f32 v4, v4, s5, -v7
	v_sub_f32_e32 v7, v12, v10
	v_fmac_f32_e32 v35, 0xbe750f2a, v6
	v_fmac_f32_e32 v34, 0x3e750f2a, v6
	;; [unrolled: 1-line block ×3, first 2 shown]
	v_add_f32_e32 v0, v4, v0
	v_fmac_f32_e32 v5, 0x3f52af12, v6
	v_add_f32_e32 v4, v17, v9
	v_sub_f32_e32 v6, v17, v9
	v_mul_f32_e32 v9, 0xbf29c268, v7
	v_add_f32_e32 v1, v5, v1
	v_add_f32_e32 v5, v12, v10
	v_mov_b32_e32 v10, v9
	v_fmac_f32_e32 v10, 0xbf3f9e67, v4
	v_mul_f32_e32 v12, 0xbf3f9e67, v5
	v_add_f32_e32 v10, v10, v16
	v_mov_b32_e32 v16, v12
	v_fma_f32 v9, v4, s10, -v9
	v_fmac_f32_e32 v12, 0xbf29c268, v6
	v_add_f32_e32 v9, v9, v11
	v_add_f32_e32 v11, v12, v18
	v_mul_f32_e32 v12, 0x3f7e222b, v7
	v_mov_b32_e32 v17, v12
	v_fma_f32 v12, v4, s4, -v12
	v_fmac_f32_e32 v16, 0x3f29c268, v6
	v_fmac_f32_e32 v17, 0x3df6dbef, v4
	v_mul_f32_e32 v18, 0x3df6dbef, v5
	v_add_f32_e32 v12, v12, v19
	v_mul_f32_e32 v19, 0xbf52af12, v7
	v_add_f32_e32 v16, v16, v21
	v_add_f32_e32 v17, v17, v20
	v_mov_b32_e32 v20, v18
	v_fmac_f32_e32 v18, 0x3f7e222b, v6
	v_mov_b32_e32 v21, v19
	v_fma_f32 v19, v4, s5, -v19
	v_fmac_f32_e32 v20, 0xbf7e222b, v6
	v_add_f32_e32 v18, v18, v22
	v_fmac_f32_e32 v21, 0x3f116cb1, v4
	v_mul_f32_e32 v22, 0x3f116cb1, v5
	v_add_f32_e32 v19, v19, v23
	v_mul_f32_e32 v23, 0x3e750f2a, v7
	v_add_f32_e32 v20, v20, v24
	v_add_f32_e32 v21, v21, v25
	v_mov_b32_e32 v24, v22
	v_fmac_f32_e32 v22, 0xbf52af12, v6
	v_mov_b32_e32 v25, v23
	v_fma_f32 v23, v4, s11, -v23
	v_fmac_f32_e32 v24, 0x3f52af12, v6
	v_add_f32_e32 v22, v22, v26
	v_fmac_f32_e32 v25, 0xbf788fa5, v4
	v_mul_f32_e32 v26, 0xbf788fa5, v5
	v_add_f32_e32 v23, v23, v27
	v_mul_f32_e32 v27, 0x3eedf032, v7
	v_add_f32_e32 v24, v24, v28
	v_add_f32_e32 v25, v25, v29
	v_mov_b32_e32 v28, v26
	v_fmac_f32_e32 v26, 0x3e750f2a, v6
	v_mov_b32_e32 v29, v27
	v_add_f32_e32 v45, v45, v49
	v_add_f32_e32 v26, v26, v30
	v_fmac_f32_e32 v29, 0x3f62ad3f, v4
	v_mul_f32_e32 v30, 0x3f62ad3f, v5
	v_mul_f32_e32 v5, 0xbeb58ec6, v5
	v_add_f32_e32 v43, v43, v47
	v_add_f32_e32 v41, v41, v45
	v_fmac_f32_e32 v28, 0xbe750f2a, v6
	v_add_f32_e32 v29, v29, v33
	v_mov_b32_e32 v33, v5
	v_add_f32_e32 v42, v42, v46
	v_add_f32_e32 v44, v44, v48
	;; [unrolled: 1-line block ×5, first 2 shown]
	v_mov_b32_e32 v31, v30
	v_fma_f32 v27, v4, s8, -v27
	v_mul_f32_e32 v7, 0xbf6f5d39, v7
	v_fmac_f32_e32 v33, 0x3f6f5d39, v6
	v_add_f32_e32 v38, v38, v42
	v_add_f32_e32 v40, v40, v44
	;; [unrolled: 1-line block ×3, first 2 shown]
	v_fmac_f32_e32 v31, 0xbeedf032, v6
	v_add_f32_e32 v27, v27, v32
	v_mov_b32_e32 v32, v7
	v_add_f32_e32 v33, v33, v37
	v_fmac_f32_e32 v5, 0xbf6f5d39, v6
	v_add_f32_e32 v37, v14, v8
	v_add_f32_e32 v34, v34, v38
	;; [unrolled: 1-line block ×4, first 2 shown]
	v_fmac_f32_e32 v30, 0x3eedf032, v6
	v_fmac_f32_e32 v32, 0xbeb58ec6, v4
	v_fma_f32 v4, v4, s9, -v7
	v_add_f32_e32 v35, v5, v1
	v_sub_f32_e32 v39, v14, v8
	v_mul_f32_e32 v5, 0xbf788fa5, v37
	v_add_f32_e32 v30, v30, v34
	v_add_f32_e32 v32, v32, v36
	;; [unrolled: 1-line block ×4, first 2 shown]
	v_sub_f32_e32 v38, v13, v15
	v_mul_f32_e32 v4, 0xbe750f2a, v39
	v_mov_b32_e32 v1, v5
	v_mul_f32_e32 v8, 0x3eedf032, v39
	v_mov_b32_e32 v0, v4
	v_fmac_f32_e32 v1, 0x3e750f2a, v38
	v_fma_f32 v4, v36, s11, -v4
	v_mov_b32_e32 v6, v8
	v_fma_f32 v8, v36, s8, -v8
	v_fmac_f32_e32 v0, 0xbf788fa5, v36
	v_add_f32_e32 v1, v1, v16
	v_add_f32_e32 v4, v4, v9
	v_fmac_f32_e32 v5, 0xbe750f2a, v38
	v_mul_f32_e32 v9, 0x3f62ad3f, v37
	v_add_f32_e32 v8, v8, v12
	v_mul_f32_e32 v12, 0xbf29c268, v39
	v_mul_f32_e32 v13, 0xbf3f9e67, v37
	v_mul_f32_e32 v16, 0x3f52af12, v39
	v_add_f32_e32 v0, v0, v10
	v_add_f32_e32 v5, v5, v11
	v_mov_b32_e32 v7, v9
	v_mov_b32_e32 v10, v12
	;; [unrolled: 1-line block ×4, first 2 shown]
	v_fmac_f32_e32 v6, 0x3f62ad3f, v36
	v_fmac_f32_e32 v7, 0xbeedf032, v38
	;; [unrolled: 1-line block ×5, first 2 shown]
	v_add_f32_e32 v6, v6, v17
	v_add_f32_e32 v7, v7, v20
	v_fmac_f32_e32 v9, 0x3eedf032, v38
	v_add_f32_e32 v10, v10, v21
	v_add_f32_e32 v11, v11, v24
	v_fma_f32 v12, v36, s10, -v12
	v_fmac_f32_e32 v13, 0xbf29c268, v38
	v_add_f32_e32 v14, v14, v25
	v_mul_f32_e32 v17, 0x3f116cb1, v37
	v_fma_f32 v16, v36, s5, -v16
	v_mul_f32_e32 v20, 0xbf6f5d39, v39
	v_mul_f32_e32 v21, 0xbeb58ec6, v37
	;; [unrolled: 1-line block ×4, first 2 shown]
	v_add_f32_e32 v9, v9, v18
	v_add_f32_e32 v12, v12, v19
	v_add_f32_e32 v13, v13, v22
	v_mov_b32_e32 v15, v17
	v_add_f32_e32 v16, v16, v23
	v_mov_b32_e32 v18, v20
	v_mov_b32_e32 v19, v21
	;; [unrolled: 1-line block ×4, first 2 shown]
	v_fmac_f32_e32 v15, 0xbf52af12, v38
	v_fmac_f32_e32 v17, 0x3f52af12, v38
	;; [unrolled: 1-line block ×4, first 2 shown]
	v_fma_f32 v20, v36, s9, -v20
	v_fmac_f32_e32 v21, 0xbf6f5d39, v38
	v_fmac_f32_e32 v22, 0x3df6dbef, v36
	;; [unrolled: 1-line block ×3, first 2 shown]
	v_fma_f32 v24, v36, s4, -v24
	v_fmac_f32_e32 v25, 0x3f7e222b, v38
	v_add_f32_e32 v15, v15, v28
	v_add_f32_e32 v17, v17, v26
	;; [unrolled: 1-line block ×10, first 2 shown]
	ds_write2_b64 v74, v[2:3], v[0:1] offset1:17
	ds_write2_b64 v74, v[6:7], v[10:11] offset0:34 offset1:51
	ds_write2_b64 v74, v[14:15], v[18:19] offset0:68 offset1:85
	ds_write2_b64 v74, v[22:23], v[24:25] offset0:102 offset1:119
	ds_write2_b64 v74, v[20:21], v[16:17] offset0:136 offset1:153
	ds_write2_b64 v74, v[12:13], v[8:9] offset0:170 offset1:187
	ds_write_b64 v74, v[4:5] offset:1632
	s_waitcnt lgkmcnt(0)
	s_barrier
	s_and_b64 exec, exec, vcc
	s_cbranch_execz .LBB0_15
; %bb.14:
	global_load_dwordx2 v[0:1], v72, s[6:7]
	ds_read_b64 v[4:5], v74
	v_mad_u64_u32 v[2:3], s[4:5], s2, v56, 0
	v_mad_u64_u32 v[6:7], s[4:5], s0, v71, 0
	s_waitcnt lgkmcnt(0)
	v_mad_u64_u32 v[8:9], s[2:3], s3, v56, v[3:4]
	s_mov_b32 s4, 0x1288b013
	s_mov_b32 s5, 0x3f7288b0
	v_mad_u64_u32 v[9:10], s[2:3], s1, v71, v[7:8]
	v_mov_b32_e32 v11, s13
	s_mul_i32 s3, s1, 0x68
	v_mov_b32_e32 v7, v9
	v_lshlrev_b64 v[6:7], 3, v[6:7]
	s_mul_hi_u32 s8, s0, 0x68
	s_mul_i32 s2, s0, 0x68
	s_add_i32 s3, s8, s3
	s_waitcnt vmcnt(0)
	v_mul_f32_e32 v3, v5, v1
	v_mul_f32_e32 v1, v4, v1
	v_fmac_f32_e32 v3, v4, v0
	v_fma_f32 v4, v0, v5, -v1
	v_cvt_f64_f32_e32 v[0:1], v3
	v_cvt_f64_f32_e32 v[4:5], v4
	v_mov_b32_e32 v3, v8
	v_lshlrev_b64 v[2:3], 3, v[2:3]
	v_mul_f64 v[0:1], v[0:1], s[4:5]
	v_mul_f64 v[4:5], v[4:5], s[4:5]
	v_add_co_u32_e32 v8, vcc, s12, v2
	v_addc_co_u32_e32 v9, vcc, v11, v3, vcc
	v_cvt_f32_f64_e32 v0, v[0:1]
	v_cvt_f32_f64_e32 v1, v[4:5]
	v_add_co_u32_e32 v4, vcc, v8, v6
	v_addc_co_u32_e32 v5, vcc, v9, v7, vcc
	global_store_dwordx2 v[4:5], v[0:1], off
	global_load_dwordx2 v[6:7], v72, s[6:7] offset:104
	ds_read2_b64 v[0:3], v74 offset0:13 offset1:26
	v_add_co_u32_e32 v4, vcc, s2, v4
	s_waitcnt vmcnt(0) lgkmcnt(0)
	v_mul_f32_e32 v10, v1, v7
	v_mul_f32_e32 v7, v0, v7
	v_fmac_f32_e32 v10, v0, v6
	v_fma_f32 v6, v6, v1, -v7
	v_cvt_f64_f32_e32 v[0:1], v10
	v_cvt_f64_f32_e32 v[6:7], v6
	v_mov_b32_e32 v10, s3
	v_addc_co_u32_e32 v5, vcc, v5, v10, vcc
	v_mul_f64 v[0:1], v[0:1], s[4:5]
	v_mul_f64 v[6:7], v[6:7], s[4:5]
	v_cvt_f32_f64_e32 v0, v[0:1]
	v_cvt_f32_f64_e32 v1, v[6:7]
	global_store_dwordx2 v[4:5], v[0:1], off
	global_load_dwordx2 v[0:1], v72, s[6:7] offset:208
	v_add_co_u32_e32 v4, vcc, s2, v4
	s_waitcnt vmcnt(0)
	v_mul_f32_e32 v6, v3, v1
	v_mul_f32_e32 v1, v2, v1
	v_fmac_f32_e32 v6, v2, v0
	v_fma_f32 v2, v0, v3, -v1
	v_cvt_f64_f32_e32 v[0:1], v6
	v_cvt_f64_f32_e32 v[2:3], v2
	v_mov_b32_e32 v6, s3
	v_addc_co_u32_e32 v5, vcc, v5, v6, vcc
	v_mul_f64 v[0:1], v[0:1], s[4:5]
	v_mul_f64 v[2:3], v[2:3], s[4:5]
	v_cvt_f32_f64_e32 v0, v[0:1]
	v_cvt_f32_f64_e32 v1, v[2:3]
	global_store_dwordx2 v[4:5], v[0:1], off
	global_load_dwordx2 v[6:7], v72, s[6:7] offset:312
	ds_read2_b64 v[0:3], v74 offset0:39 offset1:52
	v_add_co_u32_e32 v4, vcc, s2, v4
	s_waitcnt vmcnt(0) lgkmcnt(0)
	v_mul_f32_e32 v10, v1, v7
	v_mul_f32_e32 v7, v0, v7
	v_fmac_f32_e32 v10, v0, v6
	v_fma_f32 v6, v6, v1, -v7
	v_cvt_f64_f32_e32 v[0:1], v10
	v_cvt_f64_f32_e32 v[6:7], v6
	v_mov_b32_e32 v10, s3
	v_addc_co_u32_e32 v5, vcc, v5, v10, vcc
	v_mul_f64 v[0:1], v[0:1], s[4:5]
	v_mul_f64 v[6:7], v[6:7], s[4:5]
	v_cvt_f32_f64_e32 v0, v[0:1]
	v_cvt_f32_f64_e32 v1, v[6:7]
	global_store_dwordx2 v[4:5], v[0:1], off
	global_load_dwordx2 v[0:1], v72, s[6:7] offset:416
	v_add_co_u32_e32 v4, vcc, s2, v4
	s_waitcnt vmcnt(0)
	v_mul_f32_e32 v6, v3, v1
	v_mul_f32_e32 v1, v2, v1
	v_fmac_f32_e32 v6, v2, v0
	v_fma_f32 v2, v0, v3, -v1
	v_cvt_f64_f32_e32 v[0:1], v6
	v_cvt_f64_f32_e32 v[2:3], v2
	v_mov_b32_e32 v6, s3
	v_addc_co_u32_e32 v5, vcc, v5, v6, vcc
	v_mul_f64 v[0:1], v[0:1], s[4:5]
	v_mul_f64 v[2:3], v[2:3], s[4:5]
	v_cvt_f32_f64_e32 v0, v[0:1]
	v_cvt_f32_f64_e32 v1, v[2:3]
	;; [unrolled: 33-line block ×7, first 2 shown]
	global_store_dwordx2 v[4:5], v[0:1], off
	global_load_dwordx2 v[6:7], v72, s[6:7] offset:1560
	ds_read2_b64 v[0:3], v74 offset0:195 offset1:208
	v_add_co_u32_e32 v4, vcc, s2, v4
	s_waitcnt vmcnt(0) lgkmcnt(0)
	v_mul_f32_e32 v10, v1, v7
	v_mul_f32_e32 v7, v0, v7
	v_fmac_f32_e32 v10, v0, v6
	v_fma_f32 v6, v6, v1, -v7
	v_cvt_f64_f32_e32 v[0:1], v10
	v_cvt_f64_f32_e32 v[6:7], v6
	v_mov_b32_e32 v10, s3
	v_addc_co_u32_e32 v5, vcc, v5, v10, vcc
	v_mul_f64 v[0:1], v[0:1], s[4:5]
	v_mul_f64 v[6:7], v[6:7], s[4:5]
	v_cvt_f32_f64_e32 v0, v[0:1]
	v_cvt_f32_f64_e32 v1, v[6:7]
	v_or_b32_e32 v6, 0xd0, v71
	global_store_dwordx2 v[4:5], v[0:1], off
	global_load_dwordx2 v[0:1], v72, s[6:7] offset:1664
	v_mad_u64_u32 v[4:5], s[2:3], s0, v6, 0
	v_mad_u64_u32 v[5:6], s[0:1], s1, v6, v[5:6]
	v_lshlrev_b64 v[4:5], 3, v[4:5]
	s_waitcnt vmcnt(0)
	v_mul_f32_e32 v7, v3, v1
	v_mul_f32_e32 v1, v2, v1
	v_fmac_f32_e32 v7, v2, v0
	v_fma_f32 v2, v0, v3, -v1
	v_cvt_f64_f32_e32 v[0:1], v7
	v_cvt_f64_f32_e32 v[2:3], v2
	v_mul_f64 v[0:1], v[0:1], s[4:5]
	v_mul_f64 v[2:3], v[2:3], s[4:5]
	v_cvt_f32_f64_e32 v0, v[0:1]
	v_cvt_f32_f64_e32 v1, v[2:3]
	v_add_co_u32_e32 v2, vcc, v8, v4
	v_addc_co_u32_e32 v3, vcc, v9, v5, vcc
	global_store_dwordx2 v[2:3], v[0:1], off
.LBB0_15:
	s_endpgm
	.section	.rodata,"a",@progbits
	.p2align	6, 0x0
	.amdhsa_kernel bluestein_single_back_len221_dim1_sp_op_CI_CI
		.amdhsa_group_segment_fixed_size 12376
		.amdhsa_private_segment_fixed_size 0
		.amdhsa_kernarg_size 104
		.amdhsa_user_sgpr_count 6
		.amdhsa_user_sgpr_private_segment_buffer 1
		.amdhsa_user_sgpr_dispatch_ptr 0
		.amdhsa_user_sgpr_queue_ptr 0
		.amdhsa_user_sgpr_kernarg_segment_ptr 1
		.amdhsa_user_sgpr_dispatch_id 0
		.amdhsa_user_sgpr_flat_scratch_init 0
		.amdhsa_user_sgpr_private_segment_size 0
		.amdhsa_uses_dynamic_stack 0
		.amdhsa_system_sgpr_private_segment_wavefront_offset 0
		.amdhsa_system_sgpr_workgroup_id_x 1
		.amdhsa_system_sgpr_workgroup_id_y 0
		.amdhsa_system_sgpr_workgroup_id_z 0
		.amdhsa_system_sgpr_workgroup_info 0
		.amdhsa_system_vgpr_workitem_id 0
		.amdhsa_next_free_vgpr 255
		.amdhsa_next_free_sgpr 18
		.amdhsa_reserve_vcc 1
		.amdhsa_reserve_flat_scratch 0
		.amdhsa_float_round_mode_32 0
		.amdhsa_float_round_mode_16_64 0
		.amdhsa_float_denorm_mode_32 3
		.amdhsa_float_denorm_mode_16_64 3
		.amdhsa_dx10_clamp 1
		.amdhsa_ieee_mode 1
		.amdhsa_fp16_overflow 0
		.amdhsa_exception_fp_ieee_invalid_op 0
		.amdhsa_exception_fp_denorm_src 0
		.amdhsa_exception_fp_ieee_div_zero 0
		.amdhsa_exception_fp_ieee_overflow 0
		.amdhsa_exception_fp_ieee_underflow 0
		.amdhsa_exception_fp_ieee_inexact 0
		.amdhsa_exception_int_div_zero 0
	.end_amdhsa_kernel
	.text
.Lfunc_end0:
	.size	bluestein_single_back_len221_dim1_sp_op_CI_CI, .Lfunc_end0-bluestein_single_back_len221_dim1_sp_op_CI_CI
                                        ; -- End function
	.section	.AMDGPU.csdata,"",@progbits
; Kernel info:
; codeLenInByte = 20416
; NumSgprs: 22
; NumVgprs: 255
; ScratchSize: 0
; MemoryBound: 0
; FloatMode: 240
; IeeeMode: 1
; LDSByteSize: 12376 bytes/workgroup (compile time only)
; SGPRBlocks: 2
; VGPRBlocks: 63
; NumSGPRsForWavesPerEU: 22
; NumVGPRsForWavesPerEU: 255
; Occupancy: 1
; WaveLimiterHint : 1
; COMPUTE_PGM_RSRC2:SCRATCH_EN: 0
; COMPUTE_PGM_RSRC2:USER_SGPR: 6
; COMPUTE_PGM_RSRC2:TRAP_HANDLER: 0
; COMPUTE_PGM_RSRC2:TGID_X_EN: 1
; COMPUTE_PGM_RSRC2:TGID_Y_EN: 0
; COMPUTE_PGM_RSRC2:TGID_Z_EN: 0
; COMPUTE_PGM_RSRC2:TIDIG_COMP_CNT: 0
	.type	__hip_cuid_5d1669fc1f365d25,@object ; @__hip_cuid_5d1669fc1f365d25
	.section	.bss,"aw",@nobits
	.globl	__hip_cuid_5d1669fc1f365d25
__hip_cuid_5d1669fc1f365d25:
	.byte	0                               ; 0x0
	.size	__hip_cuid_5d1669fc1f365d25, 1

	.ident	"AMD clang version 19.0.0git (https://github.com/RadeonOpenCompute/llvm-project roc-6.4.0 25133 c7fe45cf4b819c5991fe208aaa96edf142730f1d)"
	.section	".note.GNU-stack","",@progbits
	.addrsig
	.addrsig_sym __hip_cuid_5d1669fc1f365d25
	.amdgpu_metadata
---
amdhsa.kernels:
  - .args:
      - .actual_access:  read_only
        .address_space:  global
        .offset:         0
        .size:           8
        .value_kind:     global_buffer
      - .actual_access:  read_only
        .address_space:  global
        .offset:         8
        .size:           8
        .value_kind:     global_buffer
      - .actual_access:  read_only
        .address_space:  global
        .offset:         16
        .size:           8
        .value_kind:     global_buffer
      - .actual_access:  read_only
        .address_space:  global
        .offset:         24
        .size:           8
        .value_kind:     global_buffer
      - .actual_access:  read_only
        .address_space:  global
        .offset:         32
        .size:           8
        .value_kind:     global_buffer
      - .offset:         40
        .size:           8
        .value_kind:     by_value
      - .address_space:  global
        .offset:         48
        .size:           8
        .value_kind:     global_buffer
      - .address_space:  global
        .offset:         56
        .size:           8
        .value_kind:     global_buffer
      - .address_space:  global
        .offset:         64
        .size:           8
        .value_kind:     global_buffer
      - .address_space:  global
        .offset:         72
        .size:           8
        .value_kind:     global_buffer
      - .offset:         80
        .size:           4
        .value_kind:     by_value
      - .address_space:  global
        .offset:         88
        .size:           8
        .value_kind:     global_buffer
      - .address_space:  global
        .offset:         96
        .size:           8
        .value_kind:     global_buffer
    .group_segment_fixed_size: 12376
    .kernarg_segment_align: 8
    .kernarg_segment_size: 104
    .language:       OpenCL C
    .language_version:
      - 2
      - 0
    .max_flat_workgroup_size: 119
    .name:           bluestein_single_back_len221_dim1_sp_op_CI_CI
    .private_segment_fixed_size: 0
    .sgpr_count:     22
    .sgpr_spill_count: 0
    .symbol:         bluestein_single_back_len221_dim1_sp_op_CI_CI.kd
    .uniform_work_group_size: 1
    .uses_dynamic_stack: false
    .vgpr_count:     255
    .vgpr_spill_count: 0
    .wavefront_size: 64
amdhsa.target:   amdgcn-amd-amdhsa--gfx906
amdhsa.version:
  - 1
  - 2
...

	.end_amdgpu_metadata
